;; amdgpu-corpus repo=pytorch/pytorch kind=compiled arch=gfx1250 opt=O3
	.amdgcn_target "amdgcn-amd-amdhsa--gfx1250"
	.amdhsa_code_object_version 6
	.section	.text._ZN2at6native29vectorized_elementwise_kernelILi16EZZZNS0_12_GLOBAL__N_124renorm_scale_factor_implERNS_18TensorIteratorBaseEdENKUlvE_clEvENKUlvE_clEvEUldE_St5arrayIPcLm2EEEEviT0_T1_,"axG",@progbits,_ZN2at6native29vectorized_elementwise_kernelILi16EZZZNS0_12_GLOBAL__N_124renorm_scale_factor_implERNS_18TensorIteratorBaseEdENKUlvE_clEvENKUlvE_clEvEUldE_St5arrayIPcLm2EEEEviT0_T1_,comdat
	.globl	_ZN2at6native29vectorized_elementwise_kernelILi16EZZZNS0_12_GLOBAL__N_124renorm_scale_factor_implERNS_18TensorIteratorBaseEdENKUlvE_clEvENKUlvE_clEvEUldE_St5arrayIPcLm2EEEEviT0_T1_ ; -- Begin function _ZN2at6native29vectorized_elementwise_kernelILi16EZZZNS0_12_GLOBAL__N_124renorm_scale_factor_implERNS_18TensorIteratorBaseEdENKUlvE_clEvENKUlvE_clEvEUldE_St5arrayIPcLm2EEEEviT0_T1_
	.p2align	8
	.type	_ZN2at6native29vectorized_elementwise_kernelILi16EZZZNS0_12_GLOBAL__N_124renorm_scale_factor_implERNS_18TensorIteratorBaseEdENKUlvE_clEvENKUlvE_clEvEUldE_St5arrayIPcLm2EEEEviT0_T1_,@function
_ZN2at6native29vectorized_elementwise_kernelILi16EZZZNS0_12_GLOBAL__N_124renorm_scale_factor_implERNS_18TensorIteratorBaseEdENKUlvE_clEvENKUlvE_clEvEUldE_St5arrayIPcLm2EEEEviT0_T1_: ; @_ZN2at6native29vectorized_elementwise_kernelILi16EZZZNS0_12_GLOBAL__N_124renorm_scale_factor_implERNS_18TensorIteratorBaseEdENKUlvE_clEvENKUlvE_clEvEUldE_St5arrayIPcLm2EEEEviT0_T1_
; %bb.0:
	s_clause 0x2
	s_load_b32 s3, s[0:1], 0x0
	s_load_b128 s[4:7], s[0:1], 0x8
	s_load_b64 s[8:9], s[0:1], 0x18
	s_wait_xcnt 0x0
	s_bfe_u32 s0, ttmp6, 0x4000c
	s_and_b32 s1, ttmp6, 15
	s_add_co_i32 s0, s0, 1
	s_getreg_b32 s2, hwreg(HW_REG_IB_STS2, 6, 4)
	s_mul_i32 s0, ttmp9, s0
	s_delay_alu instid0(SALU_CYCLE_1) | instskip(SKIP_2) | instid1(SALU_CYCLE_1)
	s_add_co_i32 s1, s1, s0
	s_cmp_eq_u32 s2, 0
	s_cselect_b32 s0, ttmp9, s1
	s_lshl_b32 s2, s0, 10
	s_mov_b32 s0, -1
	s_wait_kmcnt 0x0
	s_sub_co_i32 s10, s3, s2
	s_delay_alu instid0(SALU_CYCLE_1)
	s_cmp_gt_i32 s10, 0x3ff
	s_cbranch_scc0 .LBB0_10
; %bb.1:
	s_ashr_i32 s3, s2, 31
	v_lshlrev_b32_e32 v1, 5, v0
	s_lshl_b64 s[0:1], s[2:3], 3
	v_mov_b64_e32 v[4:5], 1.0
	s_add_nc_u64 s[12:13], s[8:9], s[0:1]
	v_mov_b64_e32 v[2:3], 1.0
	s_clause 0x1
	global_load_b128 v[10:13], v1, s[12:13]
	global_load_b128 v[6:9], v1, s[12:13] offset:16
	s_mov_b32 s3, exec_lo
	s_wait_loadcnt 0x1
	s_wait_xcnt 0x0
	v_cmpx_lt_f64_e32 s[4:5], v[10:11]
	s_cbranch_execz .LBB0_3
; %bb.2:
	v_add_f64_e32 v[2:3], 0x3e7ad7f29abcaf48, v[10:11]
	s_delay_alu instid0(VALU_DEP_1) | instskip(NEXT) | instid1(VALU_DEP_1)
	v_div_scale_f64 v[10:11], null, v[2:3], v[2:3], s[4:5]
	v_rcp_f64_e32 v[14:15], v[10:11]
	v_nop
	s_delay_alu instid0(TRANS32_DEP_1) | instskip(NEXT) | instid1(VALU_DEP_1)
	v_fma_f64 v[16:17], -v[10:11], v[14:15], 1.0
	v_fmac_f64_e32 v[14:15], v[14:15], v[16:17]
	s_delay_alu instid0(VALU_DEP_1) | instskip(NEXT) | instid1(VALU_DEP_1)
	v_fma_f64 v[16:17], -v[10:11], v[14:15], 1.0
	v_fmac_f64_e32 v[14:15], v[14:15], v[16:17]
	v_div_scale_f64 v[16:17], vcc_lo, s[4:5], v[2:3], s[4:5]
	s_delay_alu instid0(VALU_DEP_1) | instskip(NEXT) | instid1(VALU_DEP_1)
	v_mul_f64_e32 v[18:19], v[16:17], v[14:15]
	v_fma_f64 v[10:11], -v[10:11], v[18:19], v[16:17]
	s_delay_alu instid0(VALU_DEP_1) | instskip(NEXT) | instid1(VALU_DEP_1)
	v_div_fmas_f64 v[10:11], v[10:11], v[14:15], v[18:19]
	v_div_fixup_f64 v[2:3], v[10:11], v[2:3], s[4:5]
.LBB0_3:
	s_or_b32 exec_lo, exec_lo, s3
	s_delay_alu instid0(SALU_CYCLE_1)
	s_mov_b32 s3, exec_lo
	v_cmpx_lt_f64_e32 s[4:5], v[12:13]
	s_cbranch_execz .LBB0_5
; %bb.4:
	v_add_f64_e32 v[4:5], 0x3e7ad7f29abcaf48, v[12:13]
	s_delay_alu instid0(VALU_DEP_1) | instskip(NEXT) | instid1(VALU_DEP_1)
	v_div_scale_f64 v[10:11], null, v[4:5], v[4:5], s[4:5]
	v_rcp_f64_e32 v[12:13], v[10:11]
	v_nop
	s_delay_alu instid0(TRANS32_DEP_1) | instskip(NEXT) | instid1(VALU_DEP_1)
	v_fma_f64 v[14:15], -v[10:11], v[12:13], 1.0
	v_fmac_f64_e32 v[12:13], v[12:13], v[14:15]
	s_delay_alu instid0(VALU_DEP_1) | instskip(NEXT) | instid1(VALU_DEP_1)
	v_fma_f64 v[14:15], -v[10:11], v[12:13], 1.0
	v_fmac_f64_e32 v[12:13], v[12:13], v[14:15]
	v_div_scale_f64 v[14:15], vcc_lo, s[4:5], v[4:5], s[4:5]
	s_delay_alu instid0(VALU_DEP_1) | instskip(NEXT) | instid1(VALU_DEP_1)
	v_mul_f64_e32 v[16:17], v[14:15], v[12:13]
	v_fma_f64 v[10:11], -v[10:11], v[16:17], v[14:15]
	s_delay_alu instid0(VALU_DEP_1) | instskip(NEXT) | instid1(VALU_DEP_1)
	v_div_fmas_f64 v[10:11], v[10:11], v[12:13], v[16:17]
	v_div_fixup_f64 v[4:5], v[10:11], v[4:5], s[4:5]
.LBB0_5:
	s_or_b32 exec_lo, exec_lo, s3
	v_mov_b64_e32 v[12:13], 1.0
	v_mov_b64_e32 v[10:11], 1.0
	s_mov_b32 s3, exec_lo
	s_wait_loadcnt 0x0
	v_cmpx_lt_f64_e32 s[4:5], v[6:7]
	s_cbranch_execz .LBB0_7
; %bb.6:
	v_add_f64_e32 v[6:7], 0x3e7ad7f29abcaf48, v[6:7]
	s_delay_alu instid0(VALU_DEP_1) | instskip(NEXT) | instid1(VALU_DEP_1)
	v_div_scale_f64 v[10:11], null, v[6:7], v[6:7], s[4:5]
	v_rcp_f64_e32 v[14:15], v[10:11]
	v_nop
	s_delay_alu instid0(TRANS32_DEP_1) | instskip(NEXT) | instid1(VALU_DEP_1)
	v_fma_f64 v[16:17], -v[10:11], v[14:15], 1.0
	v_fmac_f64_e32 v[14:15], v[14:15], v[16:17]
	s_delay_alu instid0(VALU_DEP_1) | instskip(NEXT) | instid1(VALU_DEP_1)
	v_fma_f64 v[16:17], -v[10:11], v[14:15], 1.0
	v_fmac_f64_e32 v[14:15], v[14:15], v[16:17]
	v_div_scale_f64 v[16:17], vcc_lo, s[4:5], v[6:7], s[4:5]
	s_delay_alu instid0(VALU_DEP_1) | instskip(NEXT) | instid1(VALU_DEP_1)
	v_mul_f64_e32 v[18:19], v[16:17], v[14:15]
	v_fma_f64 v[10:11], -v[10:11], v[18:19], v[16:17]
	s_delay_alu instid0(VALU_DEP_1) | instskip(NEXT) | instid1(VALU_DEP_1)
	v_div_fmas_f64 v[10:11], v[10:11], v[14:15], v[18:19]
	v_div_fixup_f64 v[10:11], v[10:11], v[6:7], s[4:5]
.LBB0_7:
	s_or_b32 exec_lo, exec_lo, s3
	s_delay_alu instid0(SALU_CYCLE_1)
	s_mov_b32 s3, exec_lo
	v_cmpx_lt_f64_e32 s[4:5], v[8:9]
	s_cbranch_execz .LBB0_9
; %bb.8:
	v_add_f64_e32 v[6:7], 0x3e7ad7f29abcaf48, v[8:9]
	s_delay_alu instid0(VALU_DEP_1) | instskip(NEXT) | instid1(VALU_DEP_1)
	v_div_scale_f64 v[8:9], null, v[6:7], v[6:7], s[4:5]
	v_rcp_f64_e32 v[12:13], v[8:9]
	v_nop
	s_delay_alu instid0(TRANS32_DEP_1) | instskip(NEXT) | instid1(VALU_DEP_1)
	v_fma_f64 v[14:15], -v[8:9], v[12:13], 1.0
	v_fmac_f64_e32 v[12:13], v[12:13], v[14:15]
	s_delay_alu instid0(VALU_DEP_1) | instskip(NEXT) | instid1(VALU_DEP_1)
	v_fma_f64 v[14:15], -v[8:9], v[12:13], 1.0
	v_fmac_f64_e32 v[12:13], v[12:13], v[14:15]
	v_div_scale_f64 v[14:15], vcc_lo, s[4:5], v[6:7], s[4:5]
	s_delay_alu instid0(VALU_DEP_1) | instskip(NEXT) | instid1(VALU_DEP_1)
	v_mul_f64_e32 v[16:17], v[14:15], v[12:13]
	v_fma_f64 v[8:9], -v[8:9], v[16:17], v[14:15]
	s_delay_alu instid0(VALU_DEP_1) | instskip(NEXT) | instid1(VALU_DEP_1)
	v_div_fmas_f64 v[8:9], v[8:9], v[12:13], v[16:17]
	v_div_fixup_f64 v[12:13], v[8:9], v[6:7], s[4:5]
.LBB0_9:
	s_or_b32 exec_lo, exec_lo, s3
	s_add_nc_u64 s[12:13], s[6:7], s[0:1]
	s_mov_b32 s0, 0
	s_clause 0x1
	global_store_b128 v1, v[2:5], s[12:13]
	global_store_b128 v1, v[10:13], s[12:13] offset:16
.LBB0_10:
	s_and_b32 vcc_lo, exec_lo, s0
	s_cbranch_vccz .LBB0_37
; %bb.11:
	v_mov_b64_e32 v[14:15], 0
	v_mov_b64_e32 v[16:17], 0
	v_cmp_gt_i32_e64 s0, s10, v0
	s_wait_xcnt 0x0
	v_dual_mov_b32 v4, v0 :: v_dual_bitop2_b32 v1, s2, v0 bitop3:0x54
	v_or_b32_e32 v18, 0x100, v0
	s_and_saveexec_b32 s1, s0
	s_cbranch_execz .LBB0_13
; %bb.12:
	global_load_b64 v[16:17], v1, s[8:9] scale_offset
	v_or_b32_e32 v4, 0x100, v0
.LBB0_13:
	s_wait_xcnt 0x0
	s_or_b32 exec_lo, exec_lo, s1
	s_delay_alu instid0(SALU_CYCLE_1) | instskip(NEXT) | instid1(VALU_DEP_1)
	s_mov_b32 s1, exec_lo
	v_cmpx_gt_i32_e64 s10, v4
	s_cbranch_execz .LBB0_15
; %bb.14:
	v_add_nc_u32_e32 v2, s2, v4
	v_add_nc_u32_e32 v4, 0x100, v4
	global_load_b64 v[14:15], v2, s[8:9] scale_offset
.LBB0_15:
	s_wait_xcnt 0x0
	s_or_b32 exec_lo, exec_lo, s1
	v_mov_b64_e32 v[2:3], 0
	v_mov_b64_e32 v[12:13], 0
	s_mov_b32 s1, exec_lo
	v_cmpx_gt_i32_e64 s10, v4
	s_cbranch_execz .LBB0_17
; %bb.16:
	v_add_nc_u32_e32 v5, s2, v4
	v_add_nc_u32_e32 v4, 0x100, v4
	global_load_b64 v[12:13], v5, s[8:9] scale_offset
.LBB0_17:
	s_wait_xcnt 0x0
	s_or_b32 exec_lo, exec_lo, s1
	s_delay_alu instid0(SALU_CYCLE_1)
	s_mov_b32 s1, exec_lo
	v_cmpx_gt_i32_e64 s10, v4
	s_cbranch_execz .LBB0_19
; %bb.18:
	v_add_nc_u32_e32 v2, s2, v4
	global_load_b64 v[2:3], v2, s[8:9] scale_offset
.LBB0_19:
	s_wait_xcnt 0x0
	s_or_b32 exec_lo, exec_lo, s1
	v_mov_b32_e32 v6, 0
	s_delay_alu instid0(VALU_DEP_1)
	v_dual_mov_b32 v7, v6 :: v_dual_mov_b32 v10, v6
	v_dual_mov_b32 v11, v6 :: v_dual_mov_b32 v8, v6
	;; [unrolled: 1-line block ×3, first 2 shown]
	v_mov_b32_e32 v5, v6
	s_and_saveexec_b32 s1, s0
	s_cbranch_execz .LBB0_23
; %bb.20:
	v_mov_b64_e32 v[6:7], 1.0
	s_mov_b32 s3, exec_lo
	s_wait_loadcnt 0x0
	v_cmpx_lt_f64_e32 s[4:5], v[16:17]
	s_cbranch_execz .LBB0_22
; %bb.21:
	v_add_f64_e32 v[4:5], 0x3e7ad7f29abcaf48, v[16:17]
	s_delay_alu instid0(VALU_DEP_1) | instskip(NEXT) | instid1(VALU_DEP_1)
	v_div_scale_f64 v[6:7], null, v[4:5], v[4:5], s[4:5]
	v_rcp_f64_e32 v[8:9], v[6:7]
	v_nop
	s_delay_alu instid0(TRANS32_DEP_1) | instskip(NEXT) | instid1(VALU_DEP_1)
	v_fma_f64 v[10:11], -v[6:7], v[8:9], 1.0
	v_fmac_f64_e32 v[8:9], v[8:9], v[10:11]
	s_delay_alu instid0(VALU_DEP_1) | instskip(NEXT) | instid1(VALU_DEP_1)
	v_fma_f64 v[10:11], -v[6:7], v[8:9], 1.0
	v_fmac_f64_e32 v[8:9], v[8:9], v[10:11]
	v_div_scale_f64 v[10:11], vcc_lo, s[4:5], v[4:5], s[4:5]
	s_delay_alu instid0(VALU_DEP_1) | instskip(NEXT) | instid1(VALU_DEP_1)
	v_mul_f64_e32 v[16:17], v[10:11], v[8:9]
	v_fma_f64 v[6:7], -v[6:7], v[16:17], v[10:11]
	s_delay_alu instid0(VALU_DEP_1) | instskip(NEXT) | instid1(VALU_DEP_1)
	v_div_fmas_f64 v[6:7], v[6:7], v[8:9], v[16:17]
	v_div_fixup_f64 v[6:7], v[6:7], v[4:5], s[4:5]
.LBB0_22:
	s_or_b32 exec_lo, exec_lo, s3
	v_mov_b32_e32 v10, 0
	s_delay_alu instid0(VALU_DEP_1)
	v_dual_mov_b32 v11, v10 :: v_dual_mov_b32 v8, v10
	v_dual_mov_b32 v9, v10 :: v_dual_mov_b32 v4, v10
	v_mov_b32_e32 v5, v10
.LBB0_23:
	s_or_b32 exec_lo, exec_lo, s1
	s_delay_alu instid0(SALU_CYCLE_1)
	s_mov_b32 s1, exec_lo
	v_cmpx_gt_i32_e64 s10, v18
	s_cbranch_execz .LBB0_27
; %bb.24:
	v_mov_b64_e32 v[10:11], 1.0
	s_mov_b32 s3, exec_lo
	s_wait_loadcnt 0x0
	v_cmpx_lt_f64_e32 s[4:5], v[14:15]
	s_cbranch_execz .LBB0_26
; %bb.25:
	v_add_f64_e32 v[10:11], 0x3e7ad7f29abcaf48, v[14:15]
	s_delay_alu instid0(VALU_DEP_1) | instskip(NEXT) | instid1(VALU_DEP_1)
	v_div_scale_f64 v[14:15], null, v[10:11], v[10:11], s[4:5]
	v_rcp_f64_e32 v[16:17], v[14:15]
	v_nop
	s_delay_alu instid0(TRANS32_DEP_1) | instskip(NEXT) | instid1(VALU_DEP_1)
	v_fma_f64 v[20:21], -v[14:15], v[16:17], 1.0
	v_fmac_f64_e32 v[16:17], v[16:17], v[20:21]
	s_delay_alu instid0(VALU_DEP_1) | instskip(NEXT) | instid1(VALU_DEP_1)
	v_fma_f64 v[20:21], -v[14:15], v[16:17], 1.0
	v_fmac_f64_e32 v[16:17], v[16:17], v[20:21]
	v_div_scale_f64 v[20:21], vcc_lo, s[4:5], v[10:11], s[4:5]
	s_delay_alu instid0(VALU_DEP_1) | instskip(NEXT) | instid1(VALU_DEP_1)
	v_mul_f64_e32 v[22:23], v[20:21], v[16:17]
	v_fma_f64 v[14:15], -v[14:15], v[22:23], v[20:21]
	s_delay_alu instid0(VALU_DEP_1) | instskip(NEXT) | instid1(VALU_DEP_1)
	v_div_fmas_f64 v[14:15], v[14:15], v[16:17], v[22:23]
	v_div_fixup_f64 v[10:11], v[14:15], v[10:11], s[4:5]
.LBB0_26:
	s_or_b32 exec_lo, exec_lo, s3
.LBB0_27:
	s_delay_alu instid0(SALU_CYCLE_1) | instskip(SKIP_3) | instid1(VALU_DEP_1)
	s_or_b32 exec_lo, exec_lo, s1
	s_wait_loadcnt 0x0
	v_or_b32_e32 v14, 0x200, v0
	s_mov_b32 s1, exec_lo
	v_cmpx_gt_i32_e64 s10, v14
	s_cbranch_execz .LBB0_31
; %bb.28:
	v_mov_b64_e32 v[8:9], 1.0
	s_mov_b32 s3, exec_lo
	v_cmpx_lt_f64_e32 s[4:5], v[12:13]
	s_cbranch_execz .LBB0_30
; %bb.29:
	v_add_f64_e32 v[8:9], 0x3e7ad7f29abcaf48, v[12:13]
	s_delay_alu instid0(VALU_DEP_1) | instskip(NEXT) | instid1(VALU_DEP_1)
	v_div_scale_f64 v[12:13], null, v[8:9], v[8:9], s[4:5]
	v_rcp_f64_e32 v[14:15], v[12:13]
	v_nop
	s_delay_alu instid0(TRANS32_DEP_1) | instskip(NEXT) | instid1(VALU_DEP_1)
	v_fma_f64 v[16:17], -v[12:13], v[14:15], 1.0
	v_fmac_f64_e32 v[14:15], v[14:15], v[16:17]
	s_delay_alu instid0(VALU_DEP_1) | instskip(NEXT) | instid1(VALU_DEP_1)
	v_fma_f64 v[16:17], -v[12:13], v[14:15], 1.0
	v_fmac_f64_e32 v[14:15], v[14:15], v[16:17]
	v_div_scale_f64 v[16:17], vcc_lo, s[4:5], v[8:9], s[4:5]
	s_delay_alu instid0(VALU_DEP_1) | instskip(NEXT) | instid1(VALU_DEP_1)
	v_mul_f64_e32 v[20:21], v[16:17], v[14:15]
	v_fma_f64 v[12:13], -v[12:13], v[20:21], v[16:17]
	s_delay_alu instid0(VALU_DEP_1) | instskip(NEXT) | instid1(VALU_DEP_1)
	v_div_fmas_f64 v[12:13], v[12:13], v[14:15], v[20:21]
	v_div_fixup_f64 v[8:9], v[12:13], v[8:9], s[4:5]
.LBB0_30:
	s_or_b32 exec_lo, exec_lo, s3
.LBB0_31:
	s_delay_alu instid0(SALU_CYCLE_1) | instskip(SKIP_2) | instid1(VALU_DEP_1)
	s_or_b32 exec_lo, exec_lo, s1
	v_or_b32_e32 v12, 0x300, v0
	s_mov_b32 s1, exec_lo
	v_cmpx_gt_i32_e64 s10, v12
	s_cbranch_execnz .LBB0_38
; %bb.32:
	s_or_b32 exec_lo, exec_lo, s1
	s_and_saveexec_b32 s1, s0
	s_delay_alu instid0(SALU_CYCLE_1)
	s_xor_b32 s0, exec_lo, s1
	s_cbranch_execnz .LBB0_41
.LBB0_33:
	s_or_b32 exec_lo, exec_lo, s0
	s_delay_alu instid0(SALU_CYCLE_1)
	s_mov_b32 s0, exec_lo
	v_cmpx_gt_i32_e64 s10, v0
	s_cbranch_execnz .LBB0_42
.LBB0_34:
	s_or_b32 exec_lo, exec_lo, s0
	s_delay_alu instid0(SALU_CYCLE_1)
	s_mov_b32 s0, exec_lo
	v_cmpx_gt_i32_e64 s10, v0
	s_cbranch_execnz .LBB0_43
.LBB0_35:
	s_or_b32 exec_lo, exec_lo, s0
	s_delay_alu instid0(SALU_CYCLE_1)
	s_mov_b32 s0, exec_lo
	v_cmpx_gt_i32_e64 s10, v0
	s_cbranch_execz .LBB0_37
.LBB0_36:
	v_add_nc_u32_e32 v0, s2, v0
	global_store_b64 v0, v[4:5], s[6:7] scale_offset
.LBB0_37:
	s_endpgm
.LBB0_38:
	v_mov_b64_e32 v[4:5], 1.0
	s_mov_b32 s3, exec_lo
	v_cmpx_lt_f64_e32 s[4:5], v[2:3]
	s_cbranch_execz .LBB0_40
; %bb.39:
	v_add_f64_e32 v[2:3], 0x3e7ad7f29abcaf48, v[2:3]
	s_delay_alu instid0(VALU_DEP_1) | instskip(NEXT) | instid1(VALU_DEP_1)
	v_div_scale_f64 v[4:5], null, v[2:3], v[2:3], s[4:5]
	v_rcp_f64_e32 v[12:13], v[4:5]
	v_nop
	s_delay_alu instid0(TRANS32_DEP_1) | instskip(NEXT) | instid1(VALU_DEP_1)
	v_fma_f64 v[14:15], -v[4:5], v[12:13], 1.0
	v_fmac_f64_e32 v[12:13], v[12:13], v[14:15]
	s_delay_alu instid0(VALU_DEP_1) | instskip(NEXT) | instid1(VALU_DEP_1)
	v_fma_f64 v[14:15], -v[4:5], v[12:13], 1.0
	v_fmac_f64_e32 v[12:13], v[12:13], v[14:15]
	v_div_scale_f64 v[14:15], vcc_lo, s[4:5], v[2:3], s[4:5]
	s_delay_alu instid0(VALU_DEP_1) | instskip(NEXT) | instid1(VALU_DEP_1)
	v_mul_f64_e32 v[16:17], v[14:15], v[12:13]
	v_fma_f64 v[4:5], -v[4:5], v[16:17], v[14:15]
	s_delay_alu instid0(VALU_DEP_1) | instskip(NEXT) | instid1(VALU_DEP_1)
	v_div_fmas_f64 v[4:5], v[4:5], v[12:13], v[16:17]
	v_div_fixup_f64 v[4:5], v[4:5], v[2:3], s[4:5]
.LBB0_40:
	s_or_b32 exec_lo, exec_lo, s3
	s_delay_alu instid0(SALU_CYCLE_1) | instskip(SKIP_1) | instid1(SALU_CYCLE_1)
	s_or_b32 exec_lo, exec_lo, s1
	s_and_saveexec_b32 s1, s0
	s_xor_b32 s0, exec_lo, s1
	s_cbranch_execz .LBB0_33
.LBB0_41:
	v_mov_b32_e32 v0, v18
	global_store_b64 v1, v[6:7], s[6:7] scale_offset
	s_wait_xcnt 0x0
	s_or_b32 exec_lo, exec_lo, s0
	s_delay_alu instid0(SALU_CYCLE_1)
	s_mov_b32 s0, exec_lo
	v_cmpx_gt_i32_e64 s10, v0
	s_cbranch_execz .LBB0_34
.LBB0_42:
	v_add_nc_u32_e32 v1, s2, v0
	v_add_nc_u32_e32 v0, 0x100, v0
	global_store_b64 v1, v[10:11], s[6:7] scale_offset
	s_wait_xcnt 0x0
	s_or_b32 exec_lo, exec_lo, s0
	s_delay_alu instid0(SALU_CYCLE_1)
	s_mov_b32 s0, exec_lo
	v_cmpx_gt_i32_e64 s10, v0
	s_cbranch_execz .LBB0_35
.LBB0_43:
	v_add_nc_u32_e32 v1, s2, v0
	v_add_nc_u32_e32 v0, 0x100, v0
	global_store_b64 v1, v[8:9], s[6:7] scale_offset
	s_wait_xcnt 0x0
	s_or_b32 exec_lo, exec_lo, s0
	s_delay_alu instid0(SALU_CYCLE_1)
	s_mov_b32 s0, exec_lo
	v_cmpx_gt_i32_e64 s10, v0
	s_cbranch_execnz .LBB0_36
	s_branch .LBB0_37
	.section	.rodata,"a",@progbits
	.p2align	6, 0x0
	.amdhsa_kernel _ZN2at6native29vectorized_elementwise_kernelILi16EZZZNS0_12_GLOBAL__N_124renorm_scale_factor_implERNS_18TensorIteratorBaseEdENKUlvE_clEvENKUlvE_clEvEUldE_St5arrayIPcLm2EEEEviT0_T1_
		.amdhsa_group_segment_fixed_size 0
		.amdhsa_private_segment_fixed_size 0
		.amdhsa_kernarg_size 32
		.amdhsa_user_sgpr_count 2
		.amdhsa_user_sgpr_dispatch_ptr 0
		.amdhsa_user_sgpr_queue_ptr 0
		.amdhsa_user_sgpr_kernarg_segment_ptr 1
		.amdhsa_user_sgpr_dispatch_id 0
		.amdhsa_user_sgpr_kernarg_preload_length 0
		.amdhsa_user_sgpr_kernarg_preload_offset 0
		.amdhsa_user_sgpr_private_segment_size 0
		.amdhsa_wavefront_size32 1
		.amdhsa_uses_dynamic_stack 0
		.amdhsa_enable_private_segment 0
		.amdhsa_system_sgpr_workgroup_id_x 1
		.amdhsa_system_sgpr_workgroup_id_y 0
		.amdhsa_system_sgpr_workgroup_id_z 0
		.amdhsa_system_sgpr_workgroup_info 0
		.amdhsa_system_vgpr_workitem_id 0
		.amdhsa_next_free_vgpr 24
		.amdhsa_next_free_sgpr 14
		.amdhsa_named_barrier_count 0
		.amdhsa_reserve_vcc 1
		.amdhsa_float_round_mode_32 0
		.amdhsa_float_round_mode_16_64 0
		.amdhsa_float_denorm_mode_32 3
		.amdhsa_float_denorm_mode_16_64 3
		.amdhsa_fp16_overflow 0
		.amdhsa_memory_ordered 1
		.amdhsa_forward_progress 1
		.amdhsa_inst_pref_size 15
		.amdhsa_round_robin_scheduling 0
		.amdhsa_exception_fp_ieee_invalid_op 0
		.amdhsa_exception_fp_denorm_src 0
		.amdhsa_exception_fp_ieee_div_zero 0
		.amdhsa_exception_fp_ieee_overflow 0
		.amdhsa_exception_fp_ieee_underflow 0
		.amdhsa_exception_fp_ieee_inexact 0
		.amdhsa_exception_int_div_zero 0
	.end_amdhsa_kernel
	.section	.text._ZN2at6native29vectorized_elementwise_kernelILi16EZZZNS0_12_GLOBAL__N_124renorm_scale_factor_implERNS_18TensorIteratorBaseEdENKUlvE_clEvENKUlvE_clEvEUldE_St5arrayIPcLm2EEEEviT0_T1_,"axG",@progbits,_ZN2at6native29vectorized_elementwise_kernelILi16EZZZNS0_12_GLOBAL__N_124renorm_scale_factor_implERNS_18TensorIteratorBaseEdENKUlvE_clEvENKUlvE_clEvEUldE_St5arrayIPcLm2EEEEviT0_T1_,comdat
.Lfunc_end0:
	.size	_ZN2at6native29vectorized_elementwise_kernelILi16EZZZNS0_12_GLOBAL__N_124renorm_scale_factor_implERNS_18TensorIteratorBaseEdENKUlvE_clEvENKUlvE_clEvEUldE_St5arrayIPcLm2EEEEviT0_T1_, .Lfunc_end0-_ZN2at6native29vectorized_elementwise_kernelILi16EZZZNS0_12_GLOBAL__N_124renorm_scale_factor_implERNS_18TensorIteratorBaseEdENKUlvE_clEvENKUlvE_clEvEUldE_St5arrayIPcLm2EEEEviT0_T1_
                                        ; -- End function
	.set _ZN2at6native29vectorized_elementwise_kernelILi16EZZZNS0_12_GLOBAL__N_124renorm_scale_factor_implERNS_18TensorIteratorBaseEdENKUlvE_clEvENKUlvE_clEvEUldE_St5arrayIPcLm2EEEEviT0_T1_.num_vgpr, 24
	.set _ZN2at6native29vectorized_elementwise_kernelILi16EZZZNS0_12_GLOBAL__N_124renorm_scale_factor_implERNS_18TensorIteratorBaseEdENKUlvE_clEvENKUlvE_clEvEUldE_St5arrayIPcLm2EEEEviT0_T1_.num_agpr, 0
	.set _ZN2at6native29vectorized_elementwise_kernelILi16EZZZNS0_12_GLOBAL__N_124renorm_scale_factor_implERNS_18TensorIteratorBaseEdENKUlvE_clEvENKUlvE_clEvEUldE_St5arrayIPcLm2EEEEviT0_T1_.numbered_sgpr, 14
	.set _ZN2at6native29vectorized_elementwise_kernelILi16EZZZNS0_12_GLOBAL__N_124renorm_scale_factor_implERNS_18TensorIteratorBaseEdENKUlvE_clEvENKUlvE_clEvEUldE_St5arrayIPcLm2EEEEviT0_T1_.num_named_barrier, 0
	.set _ZN2at6native29vectorized_elementwise_kernelILi16EZZZNS0_12_GLOBAL__N_124renorm_scale_factor_implERNS_18TensorIteratorBaseEdENKUlvE_clEvENKUlvE_clEvEUldE_St5arrayIPcLm2EEEEviT0_T1_.private_seg_size, 0
	.set _ZN2at6native29vectorized_elementwise_kernelILi16EZZZNS0_12_GLOBAL__N_124renorm_scale_factor_implERNS_18TensorIteratorBaseEdENKUlvE_clEvENKUlvE_clEvEUldE_St5arrayIPcLm2EEEEviT0_T1_.uses_vcc, 1
	.set _ZN2at6native29vectorized_elementwise_kernelILi16EZZZNS0_12_GLOBAL__N_124renorm_scale_factor_implERNS_18TensorIteratorBaseEdENKUlvE_clEvENKUlvE_clEvEUldE_St5arrayIPcLm2EEEEviT0_T1_.uses_flat_scratch, 0
	.set _ZN2at6native29vectorized_elementwise_kernelILi16EZZZNS0_12_GLOBAL__N_124renorm_scale_factor_implERNS_18TensorIteratorBaseEdENKUlvE_clEvENKUlvE_clEvEUldE_St5arrayIPcLm2EEEEviT0_T1_.has_dyn_sized_stack, 0
	.set _ZN2at6native29vectorized_elementwise_kernelILi16EZZZNS0_12_GLOBAL__N_124renorm_scale_factor_implERNS_18TensorIteratorBaseEdENKUlvE_clEvENKUlvE_clEvEUldE_St5arrayIPcLm2EEEEviT0_T1_.has_recursion, 0
	.set _ZN2at6native29vectorized_elementwise_kernelILi16EZZZNS0_12_GLOBAL__N_124renorm_scale_factor_implERNS_18TensorIteratorBaseEdENKUlvE_clEvENKUlvE_clEvEUldE_St5arrayIPcLm2EEEEviT0_T1_.has_indirect_call, 0
	.section	.AMDGPU.csdata,"",@progbits
; Kernel info:
; codeLenInByte = 1920
; TotalNumSgprs: 16
; NumVgprs: 24
; ScratchSize: 0
; MemoryBound: 1
; FloatMode: 240
; IeeeMode: 1
; LDSByteSize: 0 bytes/workgroup (compile time only)
; SGPRBlocks: 0
; VGPRBlocks: 1
; NumSGPRsForWavesPerEU: 16
; NumVGPRsForWavesPerEU: 24
; NamedBarCnt: 0
; Occupancy: 16
; WaveLimiterHint : 0
; COMPUTE_PGM_RSRC2:SCRATCH_EN: 0
; COMPUTE_PGM_RSRC2:USER_SGPR: 2
; COMPUTE_PGM_RSRC2:TRAP_HANDLER: 0
; COMPUTE_PGM_RSRC2:TGID_X_EN: 1
; COMPUTE_PGM_RSRC2:TGID_Y_EN: 0
; COMPUTE_PGM_RSRC2:TGID_Z_EN: 0
; COMPUTE_PGM_RSRC2:TIDIG_COMP_CNT: 0
	.section	.text._ZN2at6native29vectorized_elementwise_kernelILi8EZZZNS0_12_GLOBAL__N_124renorm_scale_factor_implERNS_18TensorIteratorBaseEdENKUlvE_clEvENKUlvE_clEvEUldE_St5arrayIPcLm2EEEEviT0_T1_,"axG",@progbits,_ZN2at6native29vectorized_elementwise_kernelILi8EZZZNS0_12_GLOBAL__N_124renorm_scale_factor_implERNS_18TensorIteratorBaseEdENKUlvE_clEvENKUlvE_clEvEUldE_St5arrayIPcLm2EEEEviT0_T1_,comdat
	.globl	_ZN2at6native29vectorized_elementwise_kernelILi8EZZZNS0_12_GLOBAL__N_124renorm_scale_factor_implERNS_18TensorIteratorBaseEdENKUlvE_clEvENKUlvE_clEvEUldE_St5arrayIPcLm2EEEEviT0_T1_ ; -- Begin function _ZN2at6native29vectorized_elementwise_kernelILi8EZZZNS0_12_GLOBAL__N_124renorm_scale_factor_implERNS_18TensorIteratorBaseEdENKUlvE_clEvENKUlvE_clEvEUldE_St5arrayIPcLm2EEEEviT0_T1_
	.p2align	8
	.type	_ZN2at6native29vectorized_elementwise_kernelILi8EZZZNS0_12_GLOBAL__N_124renorm_scale_factor_implERNS_18TensorIteratorBaseEdENKUlvE_clEvENKUlvE_clEvEUldE_St5arrayIPcLm2EEEEviT0_T1_,@function
_ZN2at6native29vectorized_elementwise_kernelILi8EZZZNS0_12_GLOBAL__N_124renorm_scale_factor_implERNS_18TensorIteratorBaseEdENKUlvE_clEvENKUlvE_clEvEUldE_St5arrayIPcLm2EEEEviT0_T1_: ; @_ZN2at6native29vectorized_elementwise_kernelILi8EZZZNS0_12_GLOBAL__N_124renorm_scale_factor_implERNS_18TensorIteratorBaseEdENKUlvE_clEvENKUlvE_clEvEUldE_St5arrayIPcLm2EEEEviT0_T1_
; %bb.0:
	s_clause 0x2
	s_load_b32 s3, s[0:1], 0x0
	s_load_b128 s[4:7], s[0:1], 0x8
	s_load_b64 s[8:9], s[0:1], 0x18
	s_wait_xcnt 0x0
	s_bfe_u32 s0, ttmp6, 0x4000c
	s_and_b32 s1, ttmp6, 15
	s_add_co_i32 s0, s0, 1
	s_getreg_b32 s2, hwreg(HW_REG_IB_STS2, 6, 4)
	s_mul_i32 s0, ttmp9, s0
	s_delay_alu instid0(SALU_CYCLE_1) | instskip(SKIP_2) | instid1(SALU_CYCLE_1)
	s_add_co_i32 s1, s1, s0
	s_cmp_eq_u32 s2, 0
	s_cselect_b32 s0, ttmp9, s1
	s_lshl_b32 s2, s0, 10
	s_mov_b32 s0, -1
	s_wait_kmcnt 0x0
	s_sub_co_i32 s10, s3, s2
	s_delay_alu instid0(SALU_CYCLE_1)
	s_cmp_gt_i32 s10, 0x3ff
	s_cbranch_scc0 .LBB1_10
; %bb.1:
	s_ashr_i32 s3, s2, 31
	v_lshlrev_b32_e32 v1, 5, v0
	s_lshl_b64 s[0:1], s[2:3], 3
	v_mov_b64_e32 v[4:5], 1.0
	s_add_nc_u64 s[12:13], s[8:9], s[0:1]
	v_mov_b64_e32 v[2:3], 1.0
	s_clause 0x1
	global_load_b128 v[10:13], v1, s[12:13]
	global_load_b128 v[6:9], v1, s[12:13] offset:16
	s_mov_b32 s3, exec_lo
	s_wait_loadcnt 0x1
	s_wait_xcnt 0x0
	v_cmpx_lt_f64_e32 s[4:5], v[10:11]
	s_cbranch_execz .LBB1_3
; %bb.2:
	v_add_f64_e32 v[2:3], 0x3e7ad7f29abcaf48, v[10:11]
	s_delay_alu instid0(VALU_DEP_1) | instskip(NEXT) | instid1(VALU_DEP_1)
	v_div_scale_f64 v[10:11], null, v[2:3], v[2:3], s[4:5]
	v_rcp_f64_e32 v[14:15], v[10:11]
	v_nop
	s_delay_alu instid0(TRANS32_DEP_1) | instskip(NEXT) | instid1(VALU_DEP_1)
	v_fma_f64 v[16:17], -v[10:11], v[14:15], 1.0
	v_fmac_f64_e32 v[14:15], v[14:15], v[16:17]
	s_delay_alu instid0(VALU_DEP_1) | instskip(NEXT) | instid1(VALU_DEP_1)
	v_fma_f64 v[16:17], -v[10:11], v[14:15], 1.0
	v_fmac_f64_e32 v[14:15], v[14:15], v[16:17]
	v_div_scale_f64 v[16:17], vcc_lo, s[4:5], v[2:3], s[4:5]
	s_delay_alu instid0(VALU_DEP_1) | instskip(NEXT) | instid1(VALU_DEP_1)
	v_mul_f64_e32 v[18:19], v[16:17], v[14:15]
	v_fma_f64 v[10:11], -v[10:11], v[18:19], v[16:17]
	s_delay_alu instid0(VALU_DEP_1) | instskip(NEXT) | instid1(VALU_DEP_1)
	v_div_fmas_f64 v[10:11], v[10:11], v[14:15], v[18:19]
	v_div_fixup_f64 v[2:3], v[10:11], v[2:3], s[4:5]
.LBB1_3:
	s_or_b32 exec_lo, exec_lo, s3
	s_delay_alu instid0(SALU_CYCLE_1)
	s_mov_b32 s3, exec_lo
	v_cmpx_lt_f64_e32 s[4:5], v[12:13]
	s_cbranch_execz .LBB1_5
; %bb.4:
	v_add_f64_e32 v[4:5], 0x3e7ad7f29abcaf48, v[12:13]
	s_delay_alu instid0(VALU_DEP_1) | instskip(NEXT) | instid1(VALU_DEP_1)
	v_div_scale_f64 v[10:11], null, v[4:5], v[4:5], s[4:5]
	v_rcp_f64_e32 v[12:13], v[10:11]
	v_nop
	s_delay_alu instid0(TRANS32_DEP_1) | instskip(NEXT) | instid1(VALU_DEP_1)
	v_fma_f64 v[14:15], -v[10:11], v[12:13], 1.0
	v_fmac_f64_e32 v[12:13], v[12:13], v[14:15]
	s_delay_alu instid0(VALU_DEP_1) | instskip(NEXT) | instid1(VALU_DEP_1)
	v_fma_f64 v[14:15], -v[10:11], v[12:13], 1.0
	v_fmac_f64_e32 v[12:13], v[12:13], v[14:15]
	v_div_scale_f64 v[14:15], vcc_lo, s[4:5], v[4:5], s[4:5]
	s_delay_alu instid0(VALU_DEP_1) | instskip(NEXT) | instid1(VALU_DEP_1)
	v_mul_f64_e32 v[16:17], v[14:15], v[12:13]
	v_fma_f64 v[10:11], -v[10:11], v[16:17], v[14:15]
	s_delay_alu instid0(VALU_DEP_1) | instskip(NEXT) | instid1(VALU_DEP_1)
	v_div_fmas_f64 v[10:11], v[10:11], v[12:13], v[16:17]
	v_div_fixup_f64 v[4:5], v[10:11], v[4:5], s[4:5]
.LBB1_5:
	s_or_b32 exec_lo, exec_lo, s3
	v_mov_b64_e32 v[12:13], 1.0
	v_mov_b64_e32 v[10:11], 1.0
	s_mov_b32 s3, exec_lo
	s_wait_loadcnt 0x0
	v_cmpx_lt_f64_e32 s[4:5], v[6:7]
	s_cbranch_execz .LBB1_7
; %bb.6:
	v_add_f64_e32 v[6:7], 0x3e7ad7f29abcaf48, v[6:7]
	s_delay_alu instid0(VALU_DEP_1) | instskip(NEXT) | instid1(VALU_DEP_1)
	v_div_scale_f64 v[10:11], null, v[6:7], v[6:7], s[4:5]
	v_rcp_f64_e32 v[14:15], v[10:11]
	v_nop
	s_delay_alu instid0(TRANS32_DEP_1) | instskip(NEXT) | instid1(VALU_DEP_1)
	v_fma_f64 v[16:17], -v[10:11], v[14:15], 1.0
	v_fmac_f64_e32 v[14:15], v[14:15], v[16:17]
	s_delay_alu instid0(VALU_DEP_1) | instskip(NEXT) | instid1(VALU_DEP_1)
	v_fma_f64 v[16:17], -v[10:11], v[14:15], 1.0
	v_fmac_f64_e32 v[14:15], v[14:15], v[16:17]
	v_div_scale_f64 v[16:17], vcc_lo, s[4:5], v[6:7], s[4:5]
	s_delay_alu instid0(VALU_DEP_1) | instskip(NEXT) | instid1(VALU_DEP_1)
	v_mul_f64_e32 v[18:19], v[16:17], v[14:15]
	v_fma_f64 v[10:11], -v[10:11], v[18:19], v[16:17]
	s_delay_alu instid0(VALU_DEP_1) | instskip(NEXT) | instid1(VALU_DEP_1)
	v_div_fmas_f64 v[10:11], v[10:11], v[14:15], v[18:19]
	v_div_fixup_f64 v[10:11], v[10:11], v[6:7], s[4:5]
.LBB1_7:
	s_or_b32 exec_lo, exec_lo, s3
	s_delay_alu instid0(SALU_CYCLE_1)
	s_mov_b32 s3, exec_lo
	v_cmpx_lt_f64_e32 s[4:5], v[8:9]
	s_cbranch_execz .LBB1_9
; %bb.8:
	v_add_f64_e32 v[6:7], 0x3e7ad7f29abcaf48, v[8:9]
	s_delay_alu instid0(VALU_DEP_1) | instskip(NEXT) | instid1(VALU_DEP_1)
	v_div_scale_f64 v[8:9], null, v[6:7], v[6:7], s[4:5]
	v_rcp_f64_e32 v[12:13], v[8:9]
	v_nop
	s_delay_alu instid0(TRANS32_DEP_1) | instskip(NEXT) | instid1(VALU_DEP_1)
	v_fma_f64 v[14:15], -v[8:9], v[12:13], 1.0
	v_fmac_f64_e32 v[12:13], v[12:13], v[14:15]
	s_delay_alu instid0(VALU_DEP_1) | instskip(NEXT) | instid1(VALU_DEP_1)
	v_fma_f64 v[14:15], -v[8:9], v[12:13], 1.0
	v_fmac_f64_e32 v[12:13], v[12:13], v[14:15]
	v_div_scale_f64 v[14:15], vcc_lo, s[4:5], v[6:7], s[4:5]
	s_delay_alu instid0(VALU_DEP_1) | instskip(NEXT) | instid1(VALU_DEP_1)
	v_mul_f64_e32 v[16:17], v[14:15], v[12:13]
	v_fma_f64 v[8:9], -v[8:9], v[16:17], v[14:15]
	s_delay_alu instid0(VALU_DEP_1) | instskip(NEXT) | instid1(VALU_DEP_1)
	v_div_fmas_f64 v[8:9], v[8:9], v[12:13], v[16:17]
	v_div_fixup_f64 v[12:13], v[8:9], v[6:7], s[4:5]
.LBB1_9:
	s_or_b32 exec_lo, exec_lo, s3
	s_add_nc_u64 s[12:13], s[6:7], s[0:1]
	s_mov_b32 s0, 0
	s_clause 0x1
	global_store_b128 v1, v[2:5], s[12:13]
	global_store_b128 v1, v[10:13], s[12:13] offset:16
.LBB1_10:
	s_and_b32 vcc_lo, exec_lo, s0
	s_cbranch_vccz .LBB1_37
; %bb.11:
	v_mov_b64_e32 v[14:15], 0
	v_mov_b64_e32 v[16:17], 0
	v_cmp_gt_i32_e64 s0, s10, v0
	s_wait_xcnt 0x0
	v_dual_mov_b32 v4, v0 :: v_dual_bitop2_b32 v1, s2, v0 bitop3:0x54
	v_or_b32_e32 v18, 0x100, v0
	s_and_saveexec_b32 s1, s0
	s_cbranch_execz .LBB1_13
; %bb.12:
	global_load_b64 v[16:17], v1, s[8:9] scale_offset
	v_or_b32_e32 v4, 0x100, v0
.LBB1_13:
	s_wait_xcnt 0x0
	s_or_b32 exec_lo, exec_lo, s1
	s_delay_alu instid0(SALU_CYCLE_1) | instskip(NEXT) | instid1(VALU_DEP_1)
	s_mov_b32 s1, exec_lo
	v_cmpx_gt_i32_e64 s10, v4
	s_cbranch_execz .LBB1_15
; %bb.14:
	v_add_nc_u32_e32 v2, s2, v4
	v_add_nc_u32_e32 v4, 0x100, v4
	global_load_b64 v[14:15], v2, s[8:9] scale_offset
.LBB1_15:
	s_wait_xcnt 0x0
	s_or_b32 exec_lo, exec_lo, s1
	v_mov_b64_e32 v[2:3], 0
	v_mov_b64_e32 v[12:13], 0
	s_mov_b32 s1, exec_lo
	v_cmpx_gt_i32_e64 s10, v4
	s_cbranch_execz .LBB1_17
; %bb.16:
	v_add_nc_u32_e32 v5, s2, v4
	v_add_nc_u32_e32 v4, 0x100, v4
	global_load_b64 v[12:13], v5, s[8:9] scale_offset
.LBB1_17:
	s_wait_xcnt 0x0
	s_or_b32 exec_lo, exec_lo, s1
	s_delay_alu instid0(SALU_CYCLE_1)
	s_mov_b32 s1, exec_lo
	v_cmpx_gt_i32_e64 s10, v4
	s_cbranch_execz .LBB1_19
; %bb.18:
	v_add_nc_u32_e32 v2, s2, v4
	global_load_b64 v[2:3], v2, s[8:9] scale_offset
.LBB1_19:
	s_wait_xcnt 0x0
	s_or_b32 exec_lo, exec_lo, s1
	v_mov_b32_e32 v6, 0
	s_delay_alu instid0(VALU_DEP_1)
	v_dual_mov_b32 v7, v6 :: v_dual_mov_b32 v10, v6
	v_dual_mov_b32 v11, v6 :: v_dual_mov_b32 v8, v6
	;; [unrolled: 1-line block ×3, first 2 shown]
	v_mov_b32_e32 v5, v6
	s_and_saveexec_b32 s1, s0
	s_cbranch_execz .LBB1_23
; %bb.20:
	v_mov_b64_e32 v[6:7], 1.0
	s_mov_b32 s3, exec_lo
	s_wait_loadcnt 0x0
	v_cmpx_lt_f64_e32 s[4:5], v[16:17]
	s_cbranch_execz .LBB1_22
; %bb.21:
	v_add_f64_e32 v[4:5], 0x3e7ad7f29abcaf48, v[16:17]
	s_delay_alu instid0(VALU_DEP_1) | instskip(NEXT) | instid1(VALU_DEP_1)
	v_div_scale_f64 v[6:7], null, v[4:5], v[4:5], s[4:5]
	v_rcp_f64_e32 v[8:9], v[6:7]
	v_nop
	s_delay_alu instid0(TRANS32_DEP_1) | instskip(NEXT) | instid1(VALU_DEP_1)
	v_fma_f64 v[10:11], -v[6:7], v[8:9], 1.0
	v_fmac_f64_e32 v[8:9], v[8:9], v[10:11]
	s_delay_alu instid0(VALU_DEP_1) | instskip(NEXT) | instid1(VALU_DEP_1)
	v_fma_f64 v[10:11], -v[6:7], v[8:9], 1.0
	v_fmac_f64_e32 v[8:9], v[8:9], v[10:11]
	v_div_scale_f64 v[10:11], vcc_lo, s[4:5], v[4:5], s[4:5]
	s_delay_alu instid0(VALU_DEP_1) | instskip(NEXT) | instid1(VALU_DEP_1)
	v_mul_f64_e32 v[16:17], v[10:11], v[8:9]
	v_fma_f64 v[6:7], -v[6:7], v[16:17], v[10:11]
	s_delay_alu instid0(VALU_DEP_1) | instskip(NEXT) | instid1(VALU_DEP_1)
	v_div_fmas_f64 v[6:7], v[6:7], v[8:9], v[16:17]
	v_div_fixup_f64 v[6:7], v[6:7], v[4:5], s[4:5]
.LBB1_22:
	s_or_b32 exec_lo, exec_lo, s3
	v_mov_b32_e32 v10, 0
	s_delay_alu instid0(VALU_DEP_1)
	v_dual_mov_b32 v11, v10 :: v_dual_mov_b32 v8, v10
	v_dual_mov_b32 v9, v10 :: v_dual_mov_b32 v4, v10
	v_mov_b32_e32 v5, v10
.LBB1_23:
	s_or_b32 exec_lo, exec_lo, s1
	s_delay_alu instid0(SALU_CYCLE_1)
	s_mov_b32 s1, exec_lo
	v_cmpx_gt_i32_e64 s10, v18
	s_cbranch_execz .LBB1_27
; %bb.24:
	v_mov_b64_e32 v[10:11], 1.0
	s_mov_b32 s3, exec_lo
	s_wait_loadcnt 0x0
	v_cmpx_lt_f64_e32 s[4:5], v[14:15]
	s_cbranch_execz .LBB1_26
; %bb.25:
	v_add_f64_e32 v[10:11], 0x3e7ad7f29abcaf48, v[14:15]
	s_delay_alu instid0(VALU_DEP_1) | instskip(NEXT) | instid1(VALU_DEP_1)
	v_div_scale_f64 v[14:15], null, v[10:11], v[10:11], s[4:5]
	v_rcp_f64_e32 v[16:17], v[14:15]
	v_nop
	s_delay_alu instid0(TRANS32_DEP_1) | instskip(NEXT) | instid1(VALU_DEP_1)
	v_fma_f64 v[20:21], -v[14:15], v[16:17], 1.0
	v_fmac_f64_e32 v[16:17], v[16:17], v[20:21]
	s_delay_alu instid0(VALU_DEP_1) | instskip(NEXT) | instid1(VALU_DEP_1)
	v_fma_f64 v[20:21], -v[14:15], v[16:17], 1.0
	v_fmac_f64_e32 v[16:17], v[16:17], v[20:21]
	v_div_scale_f64 v[20:21], vcc_lo, s[4:5], v[10:11], s[4:5]
	s_delay_alu instid0(VALU_DEP_1) | instskip(NEXT) | instid1(VALU_DEP_1)
	v_mul_f64_e32 v[22:23], v[20:21], v[16:17]
	v_fma_f64 v[14:15], -v[14:15], v[22:23], v[20:21]
	s_delay_alu instid0(VALU_DEP_1) | instskip(NEXT) | instid1(VALU_DEP_1)
	v_div_fmas_f64 v[14:15], v[14:15], v[16:17], v[22:23]
	v_div_fixup_f64 v[10:11], v[14:15], v[10:11], s[4:5]
.LBB1_26:
	s_or_b32 exec_lo, exec_lo, s3
.LBB1_27:
	s_delay_alu instid0(SALU_CYCLE_1) | instskip(SKIP_3) | instid1(VALU_DEP_1)
	s_or_b32 exec_lo, exec_lo, s1
	s_wait_loadcnt 0x0
	v_or_b32_e32 v14, 0x200, v0
	s_mov_b32 s1, exec_lo
	v_cmpx_gt_i32_e64 s10, v14
	s_cbranch_execz .LBB1_31
; %bb.28:
	v_mov_b64_e32 v[8:9], 1.0
	s_mov_b32 s3, exec_lo
	v_cmpx_lt_f64_e32 s[4:5], v[12:13]
	s_cbranch_execz .LBB1_30
; %bb.29:
	v_add_f64_e32 v[8:9], 0x3e7ad7f29abcaf48, v[12:13]
	s_delay_alu instid0(VALU_DEP_1) | instskip(NEXT) | instid1(VALU_DEP_1)
	v_div_scale_f64 v[12:13], null, v[8:9], v[8:9], s[4:5]
	v_rcp_f64_e32 v[14:15], v[12:13]
	v_nop
	s_delay_alu instid0(TRANS32_DEP_1) | instskip(NEXT) | instid1(VALU_DEP_1)
	v_fma_f64 v[16:17], -v[12:13], v[14:15], 1.0
	v_fmac_f64_e32 v[14:15], v[14:15], v[16:17]
	s_delay_alu instid0(VALU_DEP_1) | instskip(NEXT) | instid1(VALU_DEP_1)
	v_fma_f64 v[16:17], -v[12:13], v[14:15], 1.0
	v_fmac_f64_e32 v[14:15], v[14:15], v[16:17]
	v_div_scale_f64 v[16:17], vcc_lo, s[4:5], v[8:9], s[4:5]
	s_delay_alu instid0(VALU_DEP_1) | instskip(NEXT) | instid1(VALU_DEP_1)
	v_mul_f64_e32 v[20:21], v[16:17], v[14:15]
	v_fma_f64 v[12:13], -v[12:13], v[20:21], v[16:17]
	s_delay_alu instid0(VALU_DEP_1) | instskip(NEXT) | instid1(VALU_DEP_1)
	v_div_fmas_f64 v[12:13], v[12:13], v[14:15], v[20:21]
	v_div_fixup_f64 v[8:9], v[12:13], v[8:9], s[4:5]
.LBB1_30:
	s_or_b32 exec_lo, exec_lo, s3
.LBB1_31:
	s_delay_alu instid0(SALU_CYCLE_1) | instskip(SKIP_2) | instid1(VALU_DEP_1)
	s_or_b32 exec_lo, exec_lo, s1
	v_or_b32_e32 v12, 0x300, v0
	s_mov_b32 s1, exec_lo
	v_cmpx_gt_i32_e64 s10, v12
	s_cbranch_execnz .LBB1_38
; %bb.32:
	s_or_b32 exec_lo, exec_lo, s1
	s_and_saveexec_b32 s1, s0
	s_delay_alu instid0(SALU_CYCLE_1)
	s_xor_b32 s0, exec_lo, s1
	s_cbranch_execnz .LBB1_41
.LBB1_33:
	s_or_b32 exec_lo, exec_lo, s0
	s_delay_alu instid0(SALU_CYCLE_1)
	s_mov_b32 s0, exec_lo
	v_cmpx_gt_i32_e64 s10, v0
	s_cbranch_execnz .LBB1_42
.LBB1_34:
	s_or_b32 exec_lo, exec_lo, s0
	s_delay_alu instid0(SALU_CYCLE_1)
	s_mov_b32 s0, exec_lo
	v_cmpx_gt_i32_e64 s10, v0
	s_cbranch_execnz .LBB1_43
.LBB1_35:
	s_or_b32 exec_lo, exec_lo, s0
	s_delay_alu instid0(SALU_CYCLE_1)
	s_mov_b32 s0, exec_lo
	v_cmpx_gt_i32_e64 s10, v0
	s_cbranch_execz .LBB1_37
.LBB1_36:
	v_add_nc_u32_e32 v0, s2, v0
	global_store_b64 v0, v[4:5], s[6:7] scale_offset
.LBB1_37:
	s_endpgm
.LBB1_38:
	v_mov_b64_e32 v[4:5], 1.0
	s_mov_b32 s3, exec_lo
	v_cmpx_lt_f64_e32 s[4:5], v[2:3]
	s_cbranch_execz .LBB1_40
; %bb.39:
	v_add_f64_e32 v[2:3], 0x3e7ad7f29abcaf48, v[2:3]
	s_delay_alu instid0(VALU_DEP_1) | instskip(NEXT) | instid1(VALU_DEP_1)
	v_div_scale_f64 v[4:5], null, v[2:3], v[2:3], s[4:5]
	v_rcp_f64_e32 v[12:13], v[4:5]
	v_nop
	s_delay_alu instid0(TRANS32_DEP_1) | instskip(NEXT) | instid1(VALU_DEP_1)
	v_fma_f64 v[14:15], -v[4:5], v[12:13], 1.0
	v_fmac_f64_e32 v[12:13], v[12:13], v[14:15]
	s_delay_alu instid0(VALU_DEP_1) | instskip(NEXT) | instid1(VALU_DEP_1)
	v_fma_f64 v[14:15], -v[4:5], v[12:13], 1.0
	v_fmac_f64_e32 v[12:13], v[12:13], v[14:15]
	v_div_scale_f64 v[14:15], vcc_lo, s[4:5], v[2:3], s[4:5]
	s_delay_alu instid0(VALU_DEP_1) | instskip(NEXT) | instid1(VALU_DEP_1)
	v_mul_f64_e32 v[16:17], v[14:15], v[12:13]
	v_fma_f64 v[4:5], -v[4:5], v[16:17], v[14:15]
	s_delay_alu instid0(VALU_DEP_1) | instskip(NEXT) | instid1(VALU_DEP_1)
	v_div_fmas_f64 v[4:5], v[4:5], v[12:13], v[16:17]
	v_div_fixup_f64 v[4:5], v[4:5], v[2:3], s[4:5]
.LBB1_40:
	s_or_b32 exec_lo, exec_lo, s3
	s_delay_alu instid0(SALU_CYCLE_1) | instskip(SKIP_1) | instid1(SALU_CYCLE_1)
	s_or_b32 exec_lo, exec_lo, s1
	s_and_saveexec_b32 s1, s0
	s_xor_b32 s0, exec_lo, s1
	s_cbranch_execz .LBB1_33
.LBB1_41:
	v_mov_b32_e32 v0, v18
	global_store_b64 v1, v[6:7], s[6:7] scale_offset
	s_wait_xcnt 0x0
	s_or_b32 exec_lo, exec_lo, s0
	s_delay_alu instid0(SALU_CYCLE_1)
	s_mov_b32 s0, exec_lo
	v_cmpx_gt_i32_e64 s10, v0
	s_cbranch_execz .LBB1_34
.LBB1_42:
	v_add_nc_u32_e32 v1, s2, v0
	v_add_nc_u32_e32 v0, 0x100, v0
	global_store_b64 v1, v[10:11], s[6:7] scale_offset
	s_wait_xcnt 0x0
	s_or_b32 exec_lo, exec_lo, s0
	s_delay_alu instid0(SALU_CYCLE_1)
	s_mov_b32 s0, exec_lo
	v_cmpx_gt_i32_e64 s10, v0
	s_cbranch_execz .LBB1_35
.LBB1_43:
	v_add_nc_u32_e32 v1, s2, v0
	v_add_nc_u32_e32 v0, 0x100, v0
	global_store_b64 v1, v[8:9], s[6:7] scale_offset
	s_wait_xcnt 0x0
	s_or_b32 exec_lo, exec_lo, s0
	s_delay_alu instid0(SALU_CYCLE_1)
	s_mov_b32 s0, exec_lo
	v_cmpx_gt_i32_e64 s10, v0
	s_cbranch_execnz .LBB1_36
	s_branch .LBB1_37
	.section	.rodata,"a",@progbits
	.p2align	6, 0x0
	.amdhsa_kernel _ZN2at6native29vectorized_elementwise_kernelILi8EZZZNS0_12_GLOBAL__N_124renorm_scale_factor_implERNS_18TensorIteratorBaseEdENKUlvE_clEvENKUlvE_clEvEUldE_St5arrayIPcLm2EEEEviT0_T1_
		.amdhsa_group_segment_fixed_size 0
		.amdhsa_private_segment_fixed_size 0
		.amdhsa_kernarg_size 32
		.amdhsa_user_sgpr_count 2
		.amdhsa_user_sgpr_dispatch_ptr 0
		.amdhsa_user_sgpr_queue_ptr 0
		.amdhsa_user_sgpr_kernarg_segment_ptr 1
		.amdhsa_user_sgpr_dispatch_id 0
		.amdhsa_user_sgpr_kernarg_preload_length 0
		.amdhsa_user_sgpr_kernarg_preload_offset 0
		.amdhsa_user_sgpr_private_segment_size 0
		.amdhsa_wavefront_size32 1
		.amdhsa_uses_dynamic_stack 0
		.amdhsa_enable_private_segment 0
		.amdhsa_system_sgpr_workgroup_id_x 1
		.amdhsa_system_sgpr_workgroup_id_y 0
		.amdhsa_system_sgpr_workgroup_id_z 0
		.amdhsa_system_sgpr_workgroup_info 0
		.amdhsa_system_vgpr_workitem_id 0
		.amdhsa_next_free_vgpr 24
		.amdhsa_next_free_sgpr 14
		.amdhsa_named_barrier_count 0
		.amdhsa_reserve_vcc 1
		.amdhsa_float_round_mode_32 0
		.amdhsa_float_round_mode_16_64 0
		.amdhsa_float_denorm_mode_32 3
		.amdhsa_float_denorm_mode_16_64 3
		.amdhsa_fp16_overflow 0
		.amdhsa_memory_ordered 1
		.amdhsa_forward_progress 1
		.amdhsa_inst_pref_size 15
		.amdhsa_round_robin_scheduling 0
		.amdhsa_exception_fp_ieee_invalid_op 0
		.amdhsa_exception_fp_denorm_src 0
		.amdhsa_exception_fp_ieee_div_zero 0
		.amdhsa_exception_fp_ieee_overflow 0
		.amdhsa_exception_fp_ieee_underflow 0
		.amdhsa_exception_fp_ieee_inexact 0
		.amdhsa_exception_int_div_zero 0
	.end_amdhsa_kernel
	.section	.text._ZN2at6native29vectorized_elementwise_kernelILi8EZZZNS0_12_GLOBAL__N_124renorm_scale_factor_implERNS_18TensorIteratorBaseEdENKUlvE_clEvENKUlvE_clEvEUldE_St5arrayIPcLm2EEEEviT0_T1_,"axG",@progbits,_ZN2at6native29vectorized_elementwise_kernelILi8EZZZNS0_12_GLOBAL__N_124renorm_scale_factor_implERNS_18TensorIteratorBaseEdENKUlvE_clEvENKUlvE_clEvEUldE_St5arrayIPcLm2EEEEviT0_T1_,comdat
.Lfunc_end1:
	.size	_ZN2at6native29vectorized_elementwise_kernelILi8EZZZNS0_12_GLOBAL__N_124renorm_scale_factor_implERNS_18TensorIteratorBaseEdENKUlvE_clEvENKUlvE_clEvEUldE_St5arrayIPcLm2EEEEviT0_T1_, .Lfunc_end1-_ZN2at6native29vectorized_elementwise_kernelILi8EZZZNS0_12_GLOBAL__N_124renorm_scale_factor_implERNS_18TensorIteratorBaseEdENKUlvE_clEvENKUlvE_clEvEUldE_St5arrayIPcLm2EEEEviT0_T1_
                                        ; -- End function
	.set _ZN2at6native29vectorized_elementwise_kernelILi8EZZZNS0_12_GLOBAL__N_124renorm_scale_factor_implERNS_18TensorIteratorBaseEdENKUlvE_clEvENKUlvE_clEvEUldE_St5arrayIPcLm2EEEEviT0_T1_.num_vgpr, 24
	.set _ZN2at6native29vectorized_elementwise_kernelILi8EZZZNS0_12_GLOBAL__N_124renorm_scale_factor_implERNS_18TensorIteratorBaseEdENKUlvE_clEvENKUlvE_clEvEUldE_St5arrayIPcLm2EEEEviT0_T1_.num_agpr, 0
	.set _ZN2at6native29vectorized_elementwise_kernelILi8EZZZNS0_12_GLOBAL__N_124renorm_scale_factor_implERNS_18TensorIteratorBaseEdENKUlvE_clEvENKUlvE_clEvEUldE_St5arrayIPcLm2EEEEviT0_T1_.numbered_sgpr, 14
	.set _ZN2at6native29vectorized_elementwise_kernelILi8EZZZNS0_12_GLOBAL__N_124renorm_scale_factor_implERNS_18TensorIteratorBaseEdENKUlvE_clEvENKUlvE_clEvEUldE_St5arrayIPcLm2EEEEviT0_T1_.num_named_barrier, 0
	.set _ZN2at6native29vectorized_elementwise_kernelILi8EZZZNS0_12_GLOBAL__N_124renorm_scale_factor_implERNS_18TensorIteratorBaseEdENKUlvE_clEvENKUlvE_clEvEUldE_St5arrayIPcLm2EEEEviT0_T1_.private_seg_size, 0
	.set _ZN2at6native29vectorized_elementwise_kernelILi8EZZZNS0_12_GLOBAL__N_124renorm_scale_factor_implERNS_18TensorIteratorBaseEdENKUlvE_clEvENKUlvE_clEvEUldE_St5arrayIPcLm2EEEEviT0_T1_.uses_vcc, 1
	.set _ZN2at6native29vectorized_elementwise_kernelILi8EZZZNS0_12_GLOBAL__N_124renorm_scale_factor_implERNS_18TensorIteratorBaseEdENKUlvE_clEvENKUlvE_clEvEUldE_St5arrayIPcLm2EEEEviT0_T1_.uses_flat_scratch, 0
	.set _ZN2at6native29vectorized_elementwise_kernelILi8EZZZNS0_12_GLOBAL__N_124renorm_scale_factor_implERNS_18TensorIteratorBaseEdENKUlvE_clEvENKUlvE_clEvEUldE_St5arrayIPcLm2EEEEviT0_T1_.has_dyn_sized_stack, 0
	.set _ZN2at6native29vectorized_elementwise_kernelILi8EZZZNS0_12_GLOBAL__N_124renorm_scale_factor_implERNS_18TensorIteratorBaseEdENKUlvE_clEvENKUlvE_clEvEUldE_St5arrayIPcLm2EEEEviT0_T1_.has_recursion, 0
	.set _ZN2at6native29vectorized_elementwise_kernelILi8EZZZNS0_12_GLOBAL__N_124renorm_scale_factor_implERNS_18TensorIteratorBaseEdENKUlvE_clEvENKUlvE_clEvEUldE_St5arrayIPcLm2EEEEviT0_T1_.has_indirect_call, 0
	.section	.AMDGPU.csdata,"",@progbits
; Kernel info:
; codeLenInByte = 1920
; TotalNumSgprs: 16
; NumVgprs: 24
; ScratchSize: 0
; MemoryBound: 1
; FloatMode: 240
; IeeeMode: 1
; LDSByteSize: 0 bytes/workgroup (compile time only)
; SGPRBlocks: 0
; VGPRBlocks: 1
; NumSGPRsForWavesPerEU: 16
; NumVGPRsForWavesPerEU: 24
; NamedBarCnt: 0
; Occupancy: 16
; WaveLimiterHint : 0
; COMPUTE_PGM_RSRC2:SCRATCH_EN: 0
; COMPUTE_PGM_RSRC2:USER_SGPR: 2
; COMPUTE_PGM_RSRC2:TRAP_HANDLER: 0
; COMPUTE_PGM_RSRC2:TGID_X_EN: 1
; COMPUTE_PGM_RSRC2:TGID_Y_EN: 0
; COMPUTE_PGM_RSRC2:TGID_Z_EN: 0
; COMPUTE_PGM_RSRC2:TIDIG_COMP_CNT: 0
	.section	.text._ZN2at6native29vectorized_elementwise_kernelILi4EZZZNS0_12_GLOBAL__N_124renorm_scale_factor_implERNS_18TensorIteratorBaseEdENKUlvE_clEvENKUlvE_clEvEUldE_St5arrayIPcLm2EEEEviT0_T1_,"axG",@progbits,_ZN2at6native29vectorized_elementwise_kernelILi4EZZZNS0_12_GLOBAL__N_124renorm_scale_factor_implERNS_18TensorIteratorBaseEdENKUlvE_clEvENKUlvE_clEvEUldE_St5arrayIPcLm2EEEEviT0_T1_,comdat
	.globl	_ZN2at6native29vectorized_elementwise_kernelILi4EZZZNS0_12_GLOBAL__N_124renorm_scale_factor_implERNS_18TensorIteratorBaseEdENKUlvE_clEvENKUlvE_clEvEUldE_St5arrayIPcLm2EEEEviT0_T1_ ; -- Begin function _ZN2at6native29vectorized_elementwise_kernelILi4EZZZNS0_12_GLOBAL__N_124renorm_scale_factor_implERNS_18TensorIteratorBaseEdENKUlvE_clEvENKUlvE_clEvEUldE_St5arrayIPcLm2EEEEviT0_T1_
	.p2align	8
	.type	_ZN2at6native29vectorized_elementwise_kernelILi4EZZZNS0_12_GLOBAL__N_124renorm_scale_factor_implERNS_18TensorIteratorBaseEdENKUlvE_clEvENKUlvE_clEvEUldE_St5arrayIPcLm2EEEEviT0_T1_,@function
_ZN2at6native29vectorized_elementwise_kernelILi4EZZZNS0_12_GLOBAL__N_124renorm_scale_factor_implERNS_18TensorIteratorBaseEdENKUlvE_clEvENKUlvE_clEvEUldE_St5arrayIPcLm2EEEEviT0_T1_: ; @_ZN2at6native29vectorized_elementwise_kernelILi4EZZZNS0_12_GLOBAL__N_124renorm_scale_factor_implERNS_18TensorIteratorBaseEdENKUlvE_clEvENKUlvE_clEvEUldE_St5arrayIPcLm2EEEEviT0_T1_
; %bb.0:
	s_clause 0x2
	s_load_b32 s3, s[0:1], 0x0
	s_load_b128 s[4:7], s[0:1], 0x8
	s_load_b64 s[8:9], s[0:1], 0x18
	s_wait_xcnt 0x0
	s_bfe_u32 s0, ttmp6, 0x4000c
	s_and_b32 s1, ttmp6, 15
	s_add_co_i32 s0, s0, 1
	s_getreg_b32 s2, hwreg(HW_REG_IB_STS2, 6, 4)
	s_mul_i32 s0, ttmp9, s0
	s_delay_alu instid0(SALU_CYCLE_1) | instskip(SKIP_2) | instid1(SALU_CYCLE_1)
	s_add_co_i32 s1, s1, s0
	s_cmp_eq_u32 s2, 0
	s_cselect_b32 s0, ttmp9, s1
	s_lshl_b32 s2, s0, 10
	s_mov_b32 s0, -1
	s_wait_kmcnt 0x0
	s_sub_co_i32 s10, s3, s2
	s_delay_alu instid0(SALU_CYCLE_1)
	s_cmp_gt_i32 s10, 0x3ff
	s_cbranch_scc0 .LBB2_10
; %bb.1:
	s_ashr_i32 s3, s2, 31
	v_lshlrev_b32_e32 v1, 5, v0
	s_lshl_b64 s[0:1], s[2:3], 3
	v_mov_b64_e32 v[4:5], 1.0
	s_add_nc_u64 s[12:13], s[8:9], s[0:1]
	v_mov_b64_e32 v[2:3], 1.0
	s_clause 0x1
	global_load_b128 v[10:13], v1, s[12:13]
	global_load_b128 v[6:9], v1, s[12:13] offset:16
	s_mov_b32 s3, exec_lo
	s_wait_loadcnt 0x1
	s_wait_xcnt 0x0
	v_cmpx_lt_f64_e32 s[4:5], v[10:11]
	s_cbranch_execz .LBB2_3
; %bb.2:
	v_add_f64_e32 v[2:3], 0x3e7ad7f29abcaf48, v[10:11]
	s_delay_alu instid0(VALU_DEP_1) | instskip(NEXT) | instid1(VALU_DEP_1)
	v_div_scale_f64 v[10:11], null, v[2:3], v[2:3], s[4:5]
	v_rcp_f64_e32 v[14:15], v[10:11]
	v_nop
	s_delay_alu instid0(TRANS32_DEP_1) | instskip(NEXT) | instid1(VALU_DEP_1)
	v_fma_f64 v[16:17], -v[10:11], v[14:15], 1.0
	v_fmac_f64_e32 v[14:15], v[14:15], v[16:17]
	s_delay_alu instid0(VALU_DEP_1) | instskip(NEXT) | instid1(VALU_DEP_1)
	v_fma_f64 v[16:17], -v[10:11], v[14:15], 1.0
	v_fmac_f64_e32 v[14:15], v[14:15], v[16:17]
	v_div_scale_f64 v[16:17], vcc_lo, s[4:5], v[2:3], s[4:5]
	s_delay_alu instid0(VALU_DEP_1) | instskip(NEXT) | instid1(VALU_DEP_1)
	v_mul_f64_e32 v[18:19], v[16:17], v[14:15]
	v_fma_f64 v[10:11], -v[10:11], v[18:19], v[16:17]
	s_delay_alu instid0(VALU_DEP_1) | instskip(NEXT) | instid1(VALU_DEP_1)
	v_div_fmas_f64 v[10:11], v[10:11], v[14:15], v[18:19]
	v_div_fixup_f64 v[2:3], v[10:11], v[2:3], s[4:5]
.LBB2_3:
	s_or_b32 exec_lo, exec_lo, s3
	s_delay_alu instid0(SALU_CYCLE_1)
	s_mov_b32 s3, exec_lo
	v_cmpx_lt_f64_e32 s[4:5], v[12:13]
	s_cbranch_execz .LBB2_5
; %bb.4:
	v_add_f64_e32 v[4:5], 0x3e7ad7f29abcaf48, v[12:13]
	s_delay_alu instid0(VALU_DEP_1) | instskip(NEXT) | instid1(VALU_DEP_1)
	v_div_scale_f64 v[10:11], null, v[4:5], v[4:5], s[4:5]
	v_rcp_f64_e32 v[12:13], v[10:11]
	v_nop
	s_delay_alu instid0(TRANS32_DEP_1) | instskip(NEXT) | instid1(VALU_DEP_1)
	v_fma_f64 v[14:15], -v[10:11], v[12:13], 1.0
	v_fmac_f64_e32 v[12:13], v[12:13], v[14:15]
	s_delay_alu instid0(VALU_DEP_1) | instskip(NEXT) | instid1(VALU_DEP_1)
	v_fma_f64 v[14:15], -v[10:11], v[12:13], 1.0
	v_fmac_f64_e32 v[12:13], v[12:13], v[14:15]
	v_div_scale_f64 v[14:15], vcc_lo, s[4:5], v[4:5], s[4:5]
	s_delay_alu instid0(VALU_DEP_1) | instskip(NEXT) | instid1(VALU_DEP_1)
	v_mul_f64_e32 v[16:17], v[14:15], v[12:13]
	v_fma_f64 v[10:11], -v[10:11], v[16:17], v[14:15]
	s_delay_alu instid0(VALU_DEP_1) | instskip(NEXT) | instid1(VALU_DEP_1)
	v_div_fmas_f64 v[10:11], v[10:11], v[12:13], v[16:17]
	v_div_fixup_f64 v[4:5], v[10:11], v[4:5], s[4:5]
.LBB2_5:
	s_or_b32 exec_lo, exec_lo, s3
	v_mov_b64_e32 v[12:13], 1.0
	v_mov_b64_e32 v[10:11], 1.0
	s_mov_b32 s3, exec_lo
	s_wait_loadcnt 0x0
	v_cmpx_lt_f64_e32 s[4:5], v[6:7]
	s_cbranch_execz .LBB2_7
; %bb.6:
	v_add_f64_e32 v[6:7], 0x3e7ad7f29abcaf48, v[6:7]
	s_delay_alu instid0(VALU_DEP_1) | instskip(NEXT) | instid1(VALU_DEP_1)
	v_div_scale_f64 v[10:11], null, v[6:7], v[6:7], s[4:5]
	v_rcp_f64_e32 v[14:15], v[10:11]
	v_nop
	s_delay_alu instid0(TRANS32_DEP_1) | instskip(NEXT) | instid1(VALU_DEP_1)
	v_fma_f64 v[16:17], -v[10:11], v[14:15], 1.0
	v_fmac_f64_e32 v[14:15], v[14:15], v[16:17]
	s_delay_alu instid0(VALU_DEP_1) | instskip(NEXT) | instid1(VALU_DEP_1)
	v_fma_f64 v[16:17], -v[10:11], v[14:15], 1.0
	v_fmac_f64_e32 v[14:15], v[14:15], v[16:17]
	v_div_scale_f64 v[16:17], vcc_lo, s[4:5], v[6:7], s[4:5]
	s_delay_alu instid0(VALU_DEP_1) | instskip(NEXT) | instid1(VALU_DEP_1)
	v_mul_f64_e32 v[18:19], v[16:17], v[14:15]
	v_fma_f64 v[10:11], -v[10:11], v[18:19], v[16:17]
	s_delay_alu instid0(VALU_DEP_1) | instskip(NEXT) | instid1(VALU_DEP_1)
	v_div_fmas_f64 v[10:11], v[10:11], v[14:15], v[18:19]
	v_div_fixup_f64 v[10:11], v[10:11], v[6:7], s[4:5]
.LBB2_7:
	s_or_b32 exec_lo, exec_lo, s3
	s_delay_alu instid0(SALU_CYCLE_1)
	s_mov_b32 s3, exec_lo
	v_cmpx_lt_f64_e32 s[4:5], v[8:9]
	s_cbranch_execz .LBB2_9
; %bb.8:
	v_add_f64_e32 v[6:7], 0x3e7ad7f29abcaf48, v[8:9]
	s_delay_alu instid0(VALU_DEP_1) | instskip(NEXT) | instid1(VALU_DEP_1)
	v_div_scale_f64 v[8:9], null, v[6:7], v[6:7], s[4:5]
	v_rcp_f64_e32 v[12:13], v[8:9]
	v_nop
	s_delay_alu instid0(TRANS32_DEP_1) | instskip(NEXT) | instid1(VALU_DEP_1)
	v_fma_f64 v[14:15], -v[8:9], v[12:13], 1.0
	v_fmac_f64_e32 v[12:13], v[12:13], v[14:15]
	s_delay_alu instid0(VALU_DEP_1) | instskip(NEXT) | instid1(VALU_DEP_1)
	v_fma_f64 v[14:15], -v[8:9], v[12:13], 1.0
	v_fmac_f64_e32 v[12:13], v[12:13], v[14:15]
	v_div_scale_f64 v[14:15], vcc_lo, s[4:5], v[6:7], s[4:5]
	s_delay_alu instid0(VALU_DEP_1) | instskip(NEXT) | instid1(VALU_DEP_1)
	v_mul_f64_e32 v[16:17], v[14:15], v[12:13]
	v_fma_f64 v[8:9], -v[8:9], v[16:17], v[14:15]
	s_delay_alu instid0(VALU_DEP_1) | instskip(NEXT) | instid1(VALU_DEP_1)
	v_div_fmas_f64 v[8:9], v[8:9], v[12:13], v[16:17]
	v_div_fixup_f64 v[12:13], v[8:9], v[6:7], s[4:5]
.LBB2_9:
	s_or_b32 exec_lo, exec_lo, s3
	s_add_nc_u64 s[12:13], s[6:7], s[0:1]
	s_mov_b32 s0, 0
	s_clause 0x1
	global_store_b128 v1, v[2:5], s[12:13]
	global_store_b128 v1, v[10:13], s[12:13] offset:16
.LBB2_10:
	s_and_b32 vcc_lo, exec_lo, s0
	s_cbranch_vccz .LBB2_37
; %bb.11:
	v_mov_b64_e32 v[14:15], 0
	v_mov_b64_e32 v[16:17], 0
	v_cmp_gt_i32_e64 s0, s10, v0
	s_wait_xcnt 0x0
	v_dual_mov_b32 v4, v0 :: v_dual_bitop2_b32 v1, s2, v0 bitop3:0x54
	v_or_b32_e32 v18, 0x100, v0
	s_and_saveexec_b32 s1, s0
	s_cbranch_execz .LBB2_13
; %bb.12:
	global_load_b64 v[16:17], v1, s[8:9] scale_offset
	v_or_b32_e32 v4, 0x100, v0
.LBB2_13:
	s_wait_xcnt 0x0
	s_or_b32 exec_lo, exec_lo, s1
	s_delay_alu instid0(SALU_CYCLE_1) | instskip(NEXT) | instid1(VALU_DEP_1)
	s_mov_b32 s1, exec_lo
	v_cmpx_gt_i32_e64 s10, v4
	s_cbranch_execz .LBB2_15
; %bb.14:
	v_add_nc_u32_e32 v2, s2, v4
	v_add_nc_u32_e32 v4, 0x100, v4
	global_load_b64 v[14:15], v2, s[8:9] scale_offset
.LBB2_15:
	s_wait_xcnt 0x0
	s_or_b32 exec_lo, exec_lo, s1
	v_mov_b64_e32 v[2:3], 0
	v_mov_b64_e32 v[12:13], 0
	s_mov_b32 s1, exec_lo
	v_cmpx_gt_i32_e64 s10, v4
	s_cbranch_execz .LBB2_17
; %bb.16:
	v_add_nc_u32_e32 v5, s2, v4
	v_add_nc_u32_e32 v4, 0x100, v4
	global_load_b64 v[12:13], v5, s[8:9] scale_offset
.LBB2_17:
	s_wait_xcnt 0x0
	s_or_b32 exec_lo, exec_lo, s1
	s_delay_alu instid0(SALU_CYCLE_1)
	s_mov_b32 s1, exec_lo
	v_cmpx_gt_i32_e64 s10, v4
	s_cbranch_execz .LBB2_19
; %bb.18:
	v_add_nc_u32_e32 v2, s2, v4
	global_load_b64 v[2:3], v2, s[8:9] scale_offset
.LBB2_19:
	s_wait_xcnt 0x0
	s_or_b32 exec_lo, exec_lo, s1
	v_mov_b32_e32 v6, 0
	s_delay_alu instid0(VALU_DEP_1)
	v_dual_mov_b32 v7, v6 :: v_dual_mov_b32 v10, v6
	v_dual_mov_b32 v11, v6 :: v_dual_mov_b32 v8, v6
	;; [unrolled: 1-line block ×3, first 2 shown]
	v_mov_b32_e32 v5, v6
	s_and_saveexec_b32 s1, s0
	s_cbranch_execz .LBB2_23
; %bb.20:
	v_mov_b64_e32 v[6:7], 1.0
	s_mov_b32 s3, exec_lo
	s_wait_loadcnt 0x0
	v_cmpx_lt_f64_e32 s[4:5], v[16:17]
	s_cbranch_execz .LBB2_22
; %bb.21:
	v_add_f64_e32 v[4:5], 0x3e7ad7f29abcaf48, v[16:17]
	s_delay_alu instid0(VALU_DEP_1) | instskip(NEXT) | instid1(VALU_DEP_1)
	v_div_scale_f64 v[6:7], null, v[4:5], v[4:5], s[4:5]
	v_rcp_f64_e32 v[8:9], v[6:7]
	v_nop
	s_delay_alu instid0(TRANS32_DEP_1) | instskip(NEXT) | instid1(VALU_DEP_1)
	v_fma_f64 v[10:11], -v[6:7], v[8:9], 1.0
	v_fmac_f64_e32 v[8:9], v[8:9], v[10:11]
	s_delay_alu instid0(VALU_DEP_1) | instskip(NEXT) | instid1(VALU_DEP_1)
	v_fma_f64 v[10:11], -v[6:7], v[8:9], 1.0
	v_fmac_f64_e32 v[8:9], v[8:9], v[10:11]
	v_div_scale_f64 v[10:11], vcc_lo, s[4:5], v[4:5], s[4:5]
	s_delay_alu instid0(VALU_DEP_1) | instskip(NEXT) | instid1(VALU_DEP_1)
	v_mul_f64_e32 v[16:17], v[10:11], v[8:9]
	v_fma_f64 v[6:7], -v[6:7], v[16:17], v[10:11]
	s_delay_alu instid0(VALU_DEP_1) | instskip(NEXT) | instid1(VALU_DEP_1)
	v_div_fmas_f64 v[6:7], v[6:7], v[8:9], v[16:17]
	v_div_fixup_f64 v[6:7], v[6:7], v[4:5], s[4:5]
.LBB2_22:
	s_or_b32 exec_lo, exec_lo, s3
	v_mov_b32_e32 v10, 0
	s_delay_alu instid0(VALU_DEP_1)
	v_dual_mov_b32 v11, v10 :: v_dual_mov_b32 v8, v10
	v_dual_mov_b32 v9, v10 :: v_dual_mov_b32 v4, v10
	v_mov_b32_e32 v5, v10
.LBB2_23:
	s_or_b32 exec_lo, exec_lo, s1
	s_delay_alu instid0(SALU_CYCLE_1)
	s_mov_b32 s1, exec_lo
	v_cmpx_gt_i32_e64 s10, v18
	s_cbranch_execz .LBB2_27
; %bb.24:
	v_mov_b64_e32 v[10:11], 1.0
	s_mov_b32 s3, exec_lo
	s_wait_loadcnt 0x0
	v_cmpx_lt_f64_e32 s[4:5], v[14:15]
	s_cbranch_execz .LBB2_26
; %bb.25:
	v_add_f64_e32 v[10:11], 0x3e7ad7f29abcaf48, v[14:15]
	s_delay_alu instid0(VALU_DEP_1) | instskip(NEXT) | instid1(VALU_DEP_1)
	v_div_scale_f64 v[14:15], null, v[10:11], v[10:11], s[4:5]
	v_rcp_f64_e32 v[16:17], v[14:15]
	v_nop
	s_delay_alu instid0(TRANS32_DEP_1) | instskip(NEXT) | instid1(VALU_DEP_1)
	v_fma_f64 v[20:21], -v[14:15], v[16:17], 1.0
	v_fmac_f64_e32 v[16:17], v[16:17], v[20:21]
	s_delay_alu instid0(VALU_DEP_1) | instskip(NEXT) | instid1(VALU_DEP_1)
	v_fma_f64 v[20:21], -v[14:15], v[16:17], 1.0
	v_fmac_f64_e32 v[16:17], v[16:17], v[20:21]
	v_div_scale_f64 v[20:21], vcc_lo, s[4:5], v[10:11], s[4:5]
	s_delay_alu instid0(VALU_DEP_1) | instskip(NEXT) | instid1(VALU_DEP_1)
	v_mul_f64_e32 v[22:23], v[20:21], v[16:17]
	v_fma_f64 v[14:15], -v[14:15], v[22:23], v[20:21]
	s_delay_alu instid0(VALU_DEP_1) | instskip(NEXT) | instid1(VALU_DEP_1)
	v_div_fmas_f64 v[14:15], v[14:15], v[16:17], v[22:23]
	v_div_fixup_f64 v[10:11], v[14:15], v[10:11], s[4:5]
.LBB2_26:
	s_or_b32 exec_lo, exec_lo, s3
.LBB2_27:
	s_delay_alu instid0(SALU_CYCLE_1) | instskip(SKIP_3) | instid1(VALU_DEP_1)
	s_or_b32 exec_lo, exec_lo, s1
	s_wait_loadcnt 0x0
	v_or_b32_e32 v14, 0x200, v0
	s_mov_b32 s1, exec_lo
	v_cmpx_gt_i32_e64 s10, v14
	s_cbranch_execz .LBB2_31
; %bb.28:
	v_mov_b64_e32 v[8:9], 1.0
	s_mov_b32 s3, exec_lo
	v_cmpx_lt_f64_e32 s[4:5], v[12:13]
	s_cbranch_execz .LBB2_30
; %bb.29:
	v_add_f64_e32 v[8:9], 0x3e7ad7f29abcaf48, v[12:13]
	s_delay_alu instid0(VALU_DEP_1) | instskip(NEXT) | instid1(VALU_DEP_1)
	v_div_scale_f64 v[12:13], null, v[8:9], v[8:9], s[4:5]
	v_rcp_f64_e32 v[14:15], v[12:13]
	v_nop
	s_delay_alu instid0(TRANS32_DEP_1) | instskip(NEXT) | instid1(VALU_DEP_1)
	v_fma_f64 v[16:17], -v[12:13], v[14:15], 1.0
	v_fmac_f64_e32 v[14:15], v[14:15], v[16:17]
	s_delay_alu instid0(VALU_DEP_1) | instskip(NEXT) | instid1(VALU_DEP_1)
	v_fma_f64 v[16:17], -v[12:13], v[14:15], 1.0
	v_fmac_f64_e32 v[14:15], v[14:15], v[16:17]
	v_div_scale_f64 v[16:17], vcc_lo, s[4:5], v[8:9], s[4:5]
	s_delay_alu instid0(VALU_DEP_1) | instskip(NEXT) | instid1(VALU_DEP_1)
	v_mul_f64_e32 v[20:21], v[16:17], v[14:15]
	v_fma_f64 v[12:13], -v[12:13], v[20:21], v[16:17]
	s_delay_alu instid0(VALU_DEP_1) | instskip(NEXT) | instid1(VALU_DEP_1)
	v_div_fmas_f64 v[12:13], v[12:13], v[14:15], v[20:21]
	v_div_fixup_f64 v[8:9], v[12:13], v[8:9], s[4:5]
.LBB2_30:
	s_or_b32 exec_lo, exec_lo, s3
.LBB2_31:
	s_delay_alu instid0(SALU_CYCLE_1) | instskip(SKIP_2) | instid1(VALU_DEP_1)
	s_or_b32 exec_lo, exec_lo, s1
	v_or_b32_e32 v12, 0x300, v0
	s_mov_b32 s1, exec_lo
	v_cmpx_gt_i32_e64 s10, v12
	s_cbranch_execnz .LBB2_38
; %bb.32:
	s_or_b32 exec_lo, exec_lo, s1
	s_and_saveexec_b32 s1, s0
	s_delay_alu instid0(SALU_CYCLE_1)
	s_xor_b32 s0, exec_lo, s1
	s_cbranch_execnz .LBB2_41
.LBB2_33:
	s_or_b32 exec_lo, exec_lo, s0
	s_delay_alu instid0(SALU_CYCLE_1)
	s_mov_b32 s0, exec_lo
	v_cmpx_gt_i32_e64 s10, v0
	s_cbranch_execnz .LBB2_42
.LBB2_34:
	s_or_b32 exec_lo, exec_lo, s0
	s_delay_alu instid0(SALU_CYCLE_1)
	s_mov_b32 s0, exec_lo
	v_cmpx_gt_i32_e64 s10, v0
	s_cbranch_execnz .LBB2_43
.LBB2_35:
	s_or_b32 exec_lo, exec_lo, s0
	s_delay_alu instid0(SALU_CYCLE_1)
	s_mov_b32 s0, exec_lo
	v_cmpx_gt_i32_e64 s10, v0
	s_cbranch_execz .LBB2_37
.LBB2_36:
	v_add_nc_u32_e32 v0, s2, v0
	global_store_b64 v0, v[4:5], s[6:7] scale_offset
.LBB2_37:
	s_endpgm
.LBB2_38:
	v_mov_b64_e32 v[4:5], 1.0
	s_mov_b32 s3, exec_lo
	v_cmpx_lt_f64_e32 s[4:5], v[2:3]
	s_cbranch_execz .LBB2_40
; %bb.39:
	v_add_f64_e32 v[2:3], 0x3e7ad7f29abcaf48, v[2:3]
	s_delay_alu instid0(VALU_DEP_1) | instskip(NEXT) | instid1(VALU_DEP_1)
	v_div_scale_f64 v[4:5], null, v[2:3], v[2:3], s[4:5]
	v_rcp_f64_e32 v[12:13], v[4:5]
	v_nop
	s_delay_alu instid0(TRANS32_DEP_1) | instskip(NEXT) | instid1(VALU_DEP_1)
	v_fma_f64 v[14:15], -v[4:5], v[12:13], 1.0
	v_fmac_f64_e32 v[12:13], v[12:13], v[14:15]
	s_delay_alu instid0(VALU_DEP_1) | instskip(NEXT) | instid1(VALU_DEP_1)
	v_fma_f64 v[14:15], -v[4:5], v[12:13], 1.0
	v_fmac_f64_e32 v[12:13], v[12:13], v[14:15]
	v_div_scale_f64 v[14:15], vcc_lo, s[4:5], v[2:3], s[4:5]
	s_delay_alu instid0(VALU_DEP_1) | instskip(NEXT) | instid1(VALU_DEP_1)
	v_mul_f64_e32 v[16:17], v[14:15], v[12:13]
	v_fma_f64 v[4:5], -v[4:5], v[16:17], v[14:15]
	s_delay_alu instid0(VALU_DEP_1) | instskip(NEXT) | instid1(VALU_DEP_1)
	v_div_fmas_f64 v[4:5], v[4:5], v[12:13], v[16:17]
	v_div_fixup_f64 v[4:5], v[4:5], v[2:3], s[4:5]
.LBB2_40:
	s_or_b32 exec_lo, exec_lo, s3
	s_delay_alu instid0(SALU_CYCLE_1) | instskip(SKIP_1) | instid1(SALU_CYCLE_1)
	s_or_b32 exec_lo, exec_lo, s1
	s_and_saveexec_b32 s1, s0
	s_xor_b32 s0, exec_lo, s1
	s_cbranch_execz .LBB2_33
.LBB2_41:
	v_mov_b32_e32 v0, v18
	global_store_b64 v1, v[6:7], s[6:7] scale_offset
	s_wait_xcnt 0x0
	s_or_b32 exec_lo, exec_lo, s0
	s_delay_alu instid0(SALU_CYCLE_1)
	s_mov_b32 s0, exec_lo
	v_cmpx_gt_i32_e64 s10, v0
	s_cbranch_execz .LBB2_34
.LBB2_42:
	v_add_nc_u32_e32 v1, s2, v0
	v_add_nc_u32_e32 v0, 0x100, v0
	global_store_b64 v1, v[10:11], s[6:7] scale_offset
	s_wait_xcnt 0x0
	s_or_b32 exec_lo, exec_lo, s0
	s_delay_alu instid0(SALU_CYCLE_1)
	s_mov_b32 s0, exec_lo
	v_cmpx_gt_i32_e64 s10, v0
	s_cbranch_execz .LBB2_35
.LBB2_43:
	v_add_nc_u32_e32 v1, s2, v0
	v_add_nc_u32_e32 v0, 0x100, v0
	global_store_b64 v1, v[8:9], s[6:7] scale_offset
	s_wait_xcnt 0x0
	s_or_b32 exec_lo, exec_lo, s0
	s_delay_alu instid0(SALU_CYCLE_1)
	s_mov_b32 s0, exec_lo
	v_cmpx_gt_i32_e64 s10, v0
	s_cbranch_execnz .LBB2_36
	s_branch .LBB2_37
	.section	.rodata,"a",@progbits
	.p2align	6, 0x0
	.amdhsa_kernel _ZN2at6native29vectorized_elementwise_kernelILi4EZZZNS0_12_GLOBAL__N_124renorm_scale_factor_implERNS_18TensorIteratorBaseEdENKUlvE_clEvENKUlvE_clEvEUldE_St5arrayIPcLm2EEEEviT0_T1_
		.amdhsa_group_segment_fixed_size 0
		.amdhsa_private_segment_fixed_size 0
		.amdhsa_kernarg_size 32
		.amdhsa_user_sgpr_count 2
		.amdhsa_user_sgpr_dispatch_ptr 0
		.amdhsa_user_sgpr_queue_ptr 0
		.amdhsa_user_sgpr_kernarg_segment_ptr 1
		.amdhsa_user_sgpr_dispatch_id 0
		.amdhsa_user_sgpr_kernarg_preload_length 0
		.amdhsa_user_sgpr_kernarg_preload_offset 0
		.amdhsa_user_sgpr_private_segment_size 0
		.amdhsa_wavefront_size32 1
		.amdhsa_uses_dynamic_stack 0
		.amdhsa_enable_private_segment 0
		.amdhsa_system_sgpr_workgroup_id_x 1
		.amdhsa_system_sgpr_workgroup_id_y 0
		.amdhsa_system_sgpr_workgroup_id_z 0
		.amdhsa_system_sgpr_workgroup_info 0
		.amdhsa_system_vgpr_workitem_id 0
		.amdhsa_next_free_vgpr 24
		.amdhsa_next_free_sgpr 14
		.amdhsa_named_barrier_count 0
		.amdhsa_reserve_vcc 1
		.amdhsa_float_round_mode_32 0
		.amdhsa_float_round_mode_16_64 0
		.amdhsa_float_denorm_mode_32 3
		.amdhsa_float_denorm_mode_16_64 3
		.amdhsa_fp16_overflow 0
		.amdhsa_memory_ordered 1
		.amdhsa_forward_progress 1
		.amdhsa_inst_pref_size 15
		.amdhsa_round_robin_scheduling 0
		.amdhsa_exception_fp_ieee_invalid_op 0
		.amdhsa_exception_fp_denorm_src 0
		.amdhsa_exception_fp_ieee_div_zero 0
		.amdhsa_exception_fp_ieee_overflow 0
		.amdhsa_exception_fp_ieee_underflow 0
		.amdhsa_exception_fp_ieee_inexact 0
		.amdhsa_exception_int_div_zero 0
	.end_amdhsa_kernel
	.section	.text._ZN2at6native29vectorized_elementwise_kernelILi4EZZZNS0_12_GLOBAL__N_124renorm_scale_factor_implERNS_18TensorIteratorBaseEdENKUlvE_clEvENKUlvE_clEvEUldE_St5arrayIPcLm2EEEEviT0_T1_,"axG",@progbits,_ZN2at6native29vectorized_elementwise_kernelILi4EZZZNS0_12_GLOBAL__N_124renorm_scale_factor_implERNS_18TensorIteratorBaseEdENKUlvE_clEvENKUlvE_clEvEUldE_St5arrayIPcLm2EEEEviT0_T1_,comdat
.Lfunc_end2:
	.size	_ZN2at6native29vectorized_elementwise_kernelILi4EZZZNS0_12_GLOBAL__N_124renorm_scale_factor_implERNS_18TensorIteratorBaseEdENKUlvE_clEvENKUlvE_clEvEUldE_St5arrayIPcLm2EEEEviT0_T1_, .Lfunc_end2-_ZN2at6native29vectorized_elementwise_kernelILi4EZZZNS0_12_GLOBAL__N_124renorm_scale_factor_implERNS_18TensorIteratorBaseEdENKUlvE_clEvENKUlvE_clEvEUldE_St5arrayIPcLm2EEEEviT0_T1_
                                        ; -- End function
	.set _ZN2at6native29vectorized_elementwise_kernelILi4EZZZNS0_12_GLOBAL__N_124renorm_scale_factor_implERNS_18TensorIteratorBaseEdENKUlvE_clEvENKUlvE_clEvEUldE_St5arrayIPcLm2EEEEviT0_T1_.num_vgpr, 24
	.set _ZN2at6native29vectorized_elementwise_kernelILi4EZZZNS0_12_GLOBAL__N_124renorm_scale_factor_implERNS_18TensorIteratorBaseEdENKUlvE_clEvENKUlvE_clEvEUldE_St5arrayIPcLm2EEEEviT0_T1_.num_agpr, 0
	.set _ZN2at6native29vectorized_elementwise_kernelILi4EZZZNS0_12_GLOBAL__N_124renorm_scale_factor_implERNS_18TensorIteratorBaseEdENKUlvE_clEvENKUlvE_clEvEUldE_St5arrayIPcLm2EEEEviT0_T1_.numbered_sgpr, 14
	.set _ZN2at6native29vectorized_elementwise_kernelILi4EZZZNS0_12_GLOBAL__N_124renorm_scale_factor_implERNS_18TensorIteratorBaseEdENKUlvE_clEvENKUlvE_clEvEUldE_St5arrayIPcLm2EEEEviT0_T1_.num_named_barrier, 0
	.set _ZN2at6native29vectorized_elementwise_kernelILi4EZZZNS0_12_GLOBAL__N_124renorm_scale_factor_implERNS_18TensorIteratorBaseEdENKUlvE_clEvENKUlvE_clEvEUldE_St5arrayIPcLm2EEEEviT0_T1_.private_seg_size, 0
	.set _ZN2at6native29vectorized_elementwise_kernelILi4EZZZNS0_12_GLOBAL__N_124renorm_scale_factor_implERNS_18TensorIteratorBaseEdENKUlvE_clEvENKUlvE_clEvEUldE_St5arrayIPcLm2EEEEviT0_T1_.uses_vcc, 1
	.set _ZN2at6native29vectorized_elementwise_kernelILi4EZZZNS0_12_GLOBAL__N_124renorm_scale_factor_implERNS_18TensorIteratorBaseEdENKUlvE_clEvENKUlvE_clEvEUldE_St5arrayIPcLm2EEEEviT0_T1_.uses_flat_scratch, 0
	.set _ZN2at6native29vectorized_elementwise_kernelILi4EZZZNS0_12_GLOBAL__N_124renorm_scale_factor_implERNS_18TensorIteratorBaseEdENKUlvE_clEvENKUlvE_clEvEUldE_St5arrayIPcLm2EEEEviT0_T1_.has_dyn_sized_stack, 0
	.set _ZN2at6native29vectorized_elementwise_kernelILi4EZZZNS0_12_GLOBAL__N_124renorm_scale_factor_implERNS_18TensorIteratorBaseEdENKUlvE_clEvENKUlvE_clEvEUldE_St5arrayIPcLm2EEEEviT0_T1_.has_recursion, 0
	.set _ZN2at6native29vectorized_elementwise_kernelILi4EZZZNS0_12_GLOBAL__N_124renorm_scale_factor_implERNS_18TensorIteratorBaseEdENKUlvE_clEvENKUlvE_clEvEUldE_St5arrayIPcLm2EEEEviT0_T1_.has_indirect_call, 0
	.section	.AMDGPU.csdata,"",@progbits
; Kernel info:
; codeLenInByte = 1920
; TotalNumSgprs: 16
; NumVgprs: 24
; ScratchSize: 0
; MemoryBound: 1
; FloatMode: 240
; IeeeMode: 1
; LDSByteSize: 0 bytes/workgroup (compile time only)
; SGPRBlocks: 0
; VGPRBlocks: 1
; NumSGPRsForWavesPerEU: 16
; NumVGPRsForWavesPerEU: 24
; NamedBarCnt: 0
; Occupancy: 16
; WaveLimiterHint : 0
; COMPUTE_PGM_RSRC2:SCRATCH_EN: 0
; COMPUTE_PGM_RSRC2:USER_SGPR: 2
; COMPUTE_PGM_RSRC2:TRAP_HANDLER: 0
; COMPUTE_PGM_RSRC2:TGID_X_EN: 1
; COMPUTE_PGM_RSRC2:TGID_Y_EN: 0
; COMPUTE_PGM_RSRC2:TGID_Z_EN: 0
; COMPUTE_PGM_RSRC2:TIDIG_COMP_CNT: 0
	.section	.text._ZN2at6native29vectorized_elementwise_kernelILi2EZZZNS0_12_GLOBAL__N_124renorm_scale_factor_implERNS_18TensorIteratorBaseEdENKUlvE_clEvENKUlvE_clEvEUldE_St5arrayIPcLm2EEEEviT0_T1_,"axG",@progbits,_ZN2at6native29vectorized_elementwise_kernelILi2EZZZNS0_12_GLOBAL__N_124renorm_scale_factor_implERNS_18TensorIteratorBaseEdENKUlvE_clEvENKUlvE_clEvEUldE_St5arrayIPcLm2EEEEviT0_T1_,comdat
	.globl	_ZN2at6native29vectorized_elementwise_kernelILi2EZZZNS0_12_GLOBAL__N_124renorm_scale_factor_implERNS_18TensorIteratorBaseEdENKUlvE_clEvENKUlvE_clEvEUldE_St5arrayIPcLm2EEEEviT0_T1_ ; -- Begin function _ZN2at6native29vectorized_elementwise_kernelILi2EZZZNS0_12_GLOBAL__N_124renorm_scale_factor_implERNS_18TensorIteratorBaseEdENKUlvE_clEvENKUlvE_clEvEUldE_St5arrayIPcLm2EEEEviT0_T1_
	.p2align	8
	.type	_ZN2at6native29vectorized_elementwise_kernelILi2EZZZNS0_12_GLOBAL__N_124renorm_scale_factor_implERNS_18TensorIteratorBaseEdENKUlvE_clEvENKUlvE_clEvEUldE_St5arrayIPcLm2EEEEviT0_T1_,@function
_ZN2at6native29vectorized_elementwise_kernelILi2EZZZNS0_12_GLOBAL__N_124renorm_scale_factor_implERNS_18TensorIteratorBaseEdENKUlvE_clEvENKUlvE_clEvEUldE_St5arrayIPcLm2EEEEviT0_T1_: ; @_ZN2at6native29vectorized_elementwise_kernelILi2EZZZNS0_12_GLOBAL__N_124renorm_scale_factor_implERNS_18TensorIteratorBaseEdENKUlvE_clEvENKUlvE_clEvEUldE_St5arrayIPcLm2EEEEviT0_T1_
; %bb.0:
	s_clause 0x2
	s_load_b32 s3, s[0:1], 0x0
	s_load_b128 s[4:7], s[0:1], 0x8
	s_load_b64 s[8:9], s[0:1], 0x18
	s_wait_xcnt 0x0
	s_bfe_u32 s0, ttmp6, 0x4000c
	s_and_b32 s1, ttmp6, 15
	s_add_co_i32 s0, s0, 1
	s_getreg_b32 s2, hwreg(HW_REG_IB_STS2, 6, 4)
	s_mul_i32 s0, ttmp9, s0
	s_delay_alu instid0(SALU_CYCLE_1) | instskip(SKIP_2) | instid1(SALU_CYCLE_1)
	s_add_co_i32 s1, s1, s0
	s_cmp_eq_u32 s2, 0
	s_cselect_b32 s0, ttmp9, s1
	s_lshl_b32 s2, s0, 10
	s_mov_b32 s0, -1
	s_wait_kmcnt 0x0
	s_sub_co_i32 s10, s3, s2
	s_delay_alu instid0(SALU_CYCLE_1)
	s_cmp_gt_i32 s10, 0x3ff
	s_cbranch_scc0 .LBB3_10
; %bb.1:
	s_ashr_i32 s3, s2, 31
	v_mov_b64_e32 v[4:5], 1.0
	s_lshl_b64 s[0:1], s[2:3], 3
	v_mov_b64_e32 v[2:3], 1.0
	s_add_nc_u64 s[12:13], s[8:9], s[0:1]
	s_mov_b32 s3, exec_lo
	s_clause 0x1
	global_load_b128 v[10:13], v0, s[12:13] scale_offset
	global_load_b128 v[6:9], v0, s[12:13] offset:4096 scale_offset
	s_wait_loadcnt 0x1
	s_wait_xcnt 0x0
	v_cmpx_lt_f64_e32 s[4:5], v[10:11]
	s_cbranch_execz .LBB3_3
; %bb.2:
	v_add_f64_e32 v[2:3], 0x3e7ad7f29abcaf48, v[10:11]
	s_delay_alu instid0(VALU_DEP_1) | instskip(NEXT) | instid1(VALU_DEP_1)
	v_div_scale_f64 v[10:11], null, v[2:3], v[2:3], s[4:5]
	v_rcp_f64_e32 v[14:15], v[10:11]
	v_nop
	s_delay_alu instid0(TRANS32_DEP_1) | instskip(NEXT) | instid1(VALU_DEP_1)
	v_fma_f64 v[16:17], -v[10:11], v[14:15], 1.0
	v_fmac_f64_e32 v[14:15], v[14:15], v[16:17]
	s_delay_alu instid0(VALU_DEP_1) | instskip(NEXT) | instid1(VALU_DEP_1)
	v_fma_f64 v[16:17], -v[10:11], v[14:15], 1.0
	v_fmac_f64_e32 v[14:15], v[14:15], v[16:17]
	v_div_scale_f64 v[16:17], vcc_lo, s[4:5], v[2:3], s[4:5]
	s_delay_alu instid0(VALU_DEP_1) | instskip(NEXT) | instid1(VALU_DEP_1)
	v_mul_f64_e32 v[18:19], v[16:17], v[14:15]
	v_fma_f64 v[10:11], -v[10:11], v[18:19], v[16:17]
	s_delay_alu instid0(VALU_DEP_1) | instskip(NEXT) | instid1(VALU_DEP_1)
	v_div_fmas_f64 v[10:11], v[10:11], v[14:15], v[18:19]
	v_div_fixup_f64 v[2:3], v[10:11], v[2:3], s[4:5]
.LBB3_3:
	s_or_b32 exec_lo, exec_lo, s3
	s_delay_alu instid0(SALU_CYCLE_1)
	s_mov_b32 s3, exec_lo
	v_cmpx_lt_f64_e32 s[4:5], v[12:13]
	s_cbranch_execz .LBB3_5
; %bb.4:
	v_add_f64_e32 v[4:5], 0x3e7ad7f29abcaf48, v[12:13]
	s_delay_alu instid0(VALU_DEP_1) | instskip(NEXT) | instid1(VALU_DEP_1)
	v_div_scale_f64 v[10:11], null, v[4:5], v[4:5], s[4:5]
	v_rcp_f64_e32 v[12:13], v[10:11]
	v_nop
	s_delay_alu instid0(TRANS32_DEP_1) | instskip(NEXT) | instid1(VALU_DEP_1)
	v_fma_f64 v[14:15], -v[10:11], v[12:13], 1.0
	v_fmac_f64_e32 v[12:13], v[12:13], v[14:15]
	s_delay_alu instid0(VALU_DEP_1) | instskip(NEXT) | instid1(VALU_DEP_1)
	v_fma_f64 v[14:15], -v[10:11], v[12:13], 1.0
	v_fmac_f64_e32 v[12:13], v[12:13], v[14:15]
	v_div_scale_f64 v[14:15], vcc_lo, s[4:5], v[4:5], s[4:5]
	s_delay_alu instid0(VALU_DEP_1) | instskip(NEXT) | instid1(VALU_DEP_1)
	v_mul_f64_e32 v[16:17], v[14:15], v[12:13]
	v_fma_f64 v[10:11], -v[10:11], v[16:17], v[14:15]
	s_delay_alu instid0(VALU_DEP_1) | instskip(NEXT) | instid1(VALU_DEP_1)
	v_div_fmas_f64 v[10:11], v[10:11], v[12:13], v[16:17]
	v_div_fixup_f64 v[4:5], v[10:11], v[4:5], s[4:5]
.LBB3_5:
	s_or_b32 exec_lo, exec_lo, s3
	v_mov_b64_e32 v[12:13], 1.0
	v_mov_b64_e32 v[10:11], 1.0
	s_mov_b32 s3, exec_lo
	s_wait_loadcnt 0x0
	v_cmpx_lt_f64_e32 s[4:5], v[6:7]
	s_cbranch_execz .LBB3_7
; %bb.6:
	v_add_f64_e32 v[6:7], 0x3e7ad7f29abcaf48, v[6:7]
	s_delay_alu instid0(VALU_DEP_1) | instskip(NEXT) | instid1(VALU_DEP_1)
	v_div_scale_f64 v[10:11], null, v[6:7], v[6:7], s[4:5]
	v_rcp_f64_e32 v[14:15], v[10:11]
	v_nop
	s_delay_alu instid0(TRANS32_DEP_1) | instskip(NEXT) | instid1(VALU_DEP_1)
	v_fma_f64 v[16:17], -v[10:11], v[14:15], 1.0
	v_fmac_f64_e32 v[14:15], v[14:15], v[16:17]
	s_delay_alu instid0(VALU_DEP_1) | instskip(NEXT) | instid1(VALU_DEP_1)
	v_fma_f64 v[16:17], -v[10:11], v[14:15], 1.0
	v_fmac_f64_e32 v[14:15], v[14:15], v[16:17]
	v_div_scale_f64 v[16:17], vcc_lo, s[4:5], v[6:7], s[4:5]
	s_delay_alu instid0(VALU_DEP_1) | instskip(NEXT) | instid1(VALU_DEP_1)
	v_mul_f64_e32 v[18:19], v[16:17], v[14:15]
	v_fma_f64 v[10:11], -v[10:11], v[18:19], v[16:17]
	s_delay_alu instid0(VALU_DEP_1) | instskip(NEXT) | instid1(VALU_DEP_1)
	v_div_fmas_f64 v[10:11], v[10:11], v[14:15], v[18:19]
	v_div_fixup_f64 v[10:11], v[10:11], v[6:7], s[4:5]
.LBB3_7:
	s_or_b32 exec_lo, exec_lo, s3
	s_delay_alu instid0(SALU_CYCLE_1)
	s_mov_b32 s3, exec_lo
	v_cmpx_lt_f64_e32 s[4:5], v[8:9]
	s_cbranch_execz .LBB3_9
; %bb.8:
	v_add_f64_e32 v[6:7], 0x3e7ad7f29abcaf48, v[8:9]
	s_delay_alu instid0(VALU_DEP_1) | instskip(NEXT) | instid1(VALU_DEP_1)
	v_div_scale_f64 v[8:9], null, v[6:7], v[6:7], s[4:5]
	v_rcp_f64_e32 v[12:13], v[8:9]
	v_nop
	s_delay_alu instid0(TRANS32_DEP_1) | instskip(NEXT) | instid1(VALU_DEP_1)
	v_fma_f64 v[14:15], -v[8:9], v[12:13], 1.0
	v_fmac_f64_e32 v[12:13], v[12:13], v[14:15]
	s_delay_alu instid0(VALU_DEP_1) | instskip(NEXT) | instid1(VALU_DEP_1)
	v_fma_f64 v[14:15], -v[8:9], v[12:13], 1.0
	v_fmac_f64_e32 v[12:13], v[12:13], v[14:15]
	v_div_scale_f64 v[14:15], vcc_lo, s[4:5], v[6:7], s[4:5]
	s_delay_alu instid0(VALU_DEP_1) | instskip(NEXT) | instid1(VALU_DEP_1)
	v_mul_f64_e32 v[16:17], v[14:15], v[12:13]
	v_fma_f64 v[8:9], -v[8:9], v[16:17], v[14:15]
	s_delay_alu instid0(VALU_DEP_1) | instskip(NEXT) | instid1(VALU_DEP_1)
	v_div_fmas_f64 v[8:9], v[8:9], v[12:13], v[16:17]
	v_div_fixup_f64 v[12:13], v[8:9], v[6:7], s[4:5]
.LBB3_9:
	s_or_b32 exec_lo, exec_lo, s3
	s_add_nc_u64 s[12:13], s[6:7], s[0:1]
	s_mov_b32 s0, 0
	s_clause 0x1
	global_store_b128 v0, v[2:5], s[12:13] scale_offset
	global_store_b128 v0, v[10:13], s[12:13] offset:4096 scale_offset
.LBB3_10:
	s_and_b32 vcc_lo, exec_lo, s0
	s_cbranch_vccz .LBB3_37
; %bb.11:
	v_mov_b64_e32 v[14:15], 0
	v_mov_b64_e32 v[16:17], 0
	v_cmp_gt_i32_e64 s0, s10, v0
	s_wait_xcnt 0x1
	v_dual_mov_b32 v4, v0 :: v_dual_bitop2_b32 v1, s2, v0 bitop3:0x54
	v_or_b32_e32 v18, 0x100, v0
	s_wait_xcnt 0x0
	s_and_saveexec_b32 s1, s0
	s_cbranch_execz .LBB3_13
; %bb.12:
	global_load_b64 v[16:17], v1, s[8:9] scale_offset
	v_or_b32_e32 v4, 0x100, v0
.LBB3_13:
	s_wait_xcnt 0x0
	s_or_b32 exec_lo, exec_lo, s1
	s_delay_alu instid0(SALU_CYCLE_1) | instskip(NEXT) | instid1(VALU_DEP_1)
	s_mov_b32 s1, exec_lo
	v_cmpx_gt_i32_e64 s10, v4
	s_cbranch_execz .LBB3_15
; %bb.14:
	v_add_nc_u32_e32 v2, s2, v4
	v_add_nc_u32_e32 v4, 0x100, v4
	global_load_b64 v[14:15], v2, s[8:9] scale_offset
.LBB3_15:
	s_wait_xcnt 0x0
	s_or_b32 exec_lo, exec_lo, s1
	v_mov_b64_e32 v[2:3], 0
	v_mov_b64_e32 v[12:13], 0
	s_mov_b32 s1, exec_lo
	v_cmpx_gt_i32_e64 s10, v4
	s_cbranch_execz .LBB3_17
; %bb.16:
	v_add_nc_u32_e32 v5, s2, v4
	v_add_nc_u32_e32 v4, 0x100, v4
	global_load_b64 v[12:13], v5, s[8:9] scale_offset
.LBB3_17:
	s_wait_xcnt 0x0
	s_or_b32 exec_lo, exec_lo, s1
	s_delay_alu instid0(SALU_CYCLE_1)
	s_mov_b32 s1, exec_lo
	v_cmpx_gt_i32_e64 s10, v4
	s_cbranch_execz .LBB3_19
; %bb.18:
	v_add_nc_u32_e32 v2, s2, v4
	global_load_b64 v[2:3], v2, s[8:9] scale_offset
.LBB3_19:
	s_wait_xcnt 0x0
	s_or_b32 exec_lo, exec_lo, s1
	v_mov_b32_e32 v6, 0
	s_delay_alu instid0(VALU_DEP_1)
	v_dual_mov_b32 v7, v6 :: v_dual_mov_b32 v10, v6
	v_dual_mov_b32 v11, v6 :: v_dual_mov_b32 v8, v6
	;; [unrolled: 1-line block ×3, first 2 shown]
	v_mov_b32_e32 v5, v6
	s_and_saveexec_b32 s1, s0
	s_cbranch_execz .LBB3_23
; %bb.20:
	v_mov_b64_e32 v[6:7], 1.0
	s_mov_b32 s3, exec_lo
	s_wait_loadcnt 0x0
	v_cmpx_lt_f64_e32 s[4:5], v[16:17]
	s_cbranch_execz .LBB3_22
; %bb.21:
	v_add_f64_e32 v[4:5], 0x3e7ad7f29abcaf48, v[16:17]
	s_delay_alu instid0(VALU_DEP_1) | instskip(NEXT) | instid1(VALU_DEP_1)
	v_div_scale_f64 v[6:7], null, v[4:5], v[4:5], s[4:5]
	v_rcp_f64_e32 v[8:9], v[6:7]
	v_nop
	s_delay_alu instid0(TRANS32_DEP_1) | instskip(NEXT) | instid1(VALU_DEP_1)
	v_fma_f64 v[10:11], -v[6:7], v[8:9], 1.0
	v_fmac_f64_e32 v[8:9], v[8:9], v[10:11]
	s_delay_alu instid0(VALU_DEP_1) | instskip(NEXT) | instid1(VALU_DEP_1)
	v_fma_f64 v[10:11], -v[6:7], v[8:9], 1.0
	v_fmac_f64_e32 v[8:9], v[8:9], v[10:11]
	v_div_scale_f64 v[10:11], vcc_lo, s[4:5], v[4:5], s[4:5]
	s_delay_alu instid0(VALU_DEP_1) | instskip(NEXT) | instid1(VALU_DEP_1)
	v_mul_f64_e32 v[16:17], v[10:11], v[8:9]
	v_fma_f64 v[6:7], -v[6:7], v[16:17], v[10:11]
	s_delay_alu instid0(VALU_DEP_1) | instskip(NEXT) | instid1(VALU_DEP_1)
	v_div_fmas_f64 v[6:7], v[6:7], v[8:9], v[16:17]
	v_div_fixup_f64 v[6:7], v[6:7], v[4:5], s[4:5]
.LBB3_22:
	s_or_b32 exec_lo, exec_lo, s3
	v_mov_b32_e32 v10, 0
	s_delay_alu instid0(VALU_DEP_1)
	v_dual_mov_b32 v11, v10 :: v_dual_mov_b32 v8, v10
	v_dual_mov_b32 v9, v10 :: v_dual_mov_b32 v4, v10
	v_mov_b32_e32 v5, v10
.LBB3_23:
	s_or_b32 exec_lo, exec_lo, s1
	s_delay_alu instid0(SALU_CYCLE_1)
	s_mov_b32 s1, exec_lo
	v_cmpx_gt_i32_e64 s10, v18
	s_cbranch_execz .LBB3_27
; %bb.24:
	v_mov_b64_e32 v[10:11], 1.0
	s_mov_b32 s3, exec_lo
	s_wait_loadcnt 0x0
	v_cmpx_lt_f64_e32 s[4:5], v[14:15]
	s_cbranch_execz .LBB3_26
; %bb.25:
	v_add_f64_e32 v[10:11], 0x3e7ad7f29abcaf48, v[14:15]
	s_delay_alu instid0(VALU_DEP_1) | instskip(NEXT) | instid1(VALU_DEP_1)
	v_div_scale_f64 v[14:15], null, v[10:11], v[10:11], s[4:5]
	v_rcp_f64_e32 v[16:17], v[14:15]
	v_nop
	s_delay_alu instid0(TRANS32_DEP_1) | instskip(NEXT) | instid1(VALU_DEP_1)
	v_fma_f64 v[20:21], -v[14:15], v[16:17], 1.0
	v_fmac_f64_e32 v[16:17], v[16:17], v[20:21]
	s_delay_alu instid0(VALU_DEP_1) | instskip(NEXT) | instid1(VALU_DEP_1)
	v_fma_f64 v[20:21], -v[14:15], v[16:17], 1.0
	v_fmac_f64_e32 v[16:17], v[16:17], v[20:21]
	v_div_scale_f64 v[20:21], vcc_lo, s[4:5], v[10:11], s[4:5]
	s_delay_alu instid0(VALU_DEP_1) | instskip(NEXT) | instid1(VALU_DEP_1)
	v_mul_f64_e32 v[22:23], v[20:21], v[16:17]
	v_fma_f64 v[14:15], -v[14:15], v[22:23], v[20:21]
	s_delay_alu instid0(VALU_DEP_1) | instskip(NEXT) | instid1(VALU_DEP_1)
	v_div_fmas_f64 v[14:15], v[14:15], v[16:17], v[22:23]
	v_div_fixup_f64 v[10:11], v[14:15], v[10:11], s[4:5]
.LBB3_26:
	s_or_b32 exec_lo, exec_lo, s3
.LBB3_27:
	s_delay_alu instid0(SALU_CYCLE_1) | instskip(SKIP_3) | instid1(VALU_DEP_1)
	s_or_b32 exec_lo, exec_lo, s1
	s_wait_loadcnt 0x0
	v_or_b32_e32 v14, 0x200, v0
	s_mov_b32 s1, exec_lo
	v_cmpx_gt_i32_e64 s10, v14
	s_cbranch_execz .LBB3_31
; %bb.28:
	v_mov_b64_e32 v[8:9], 1.0
	s_mov_b32 s3, exec_lo
	v_cmpx_lt_f64_e32 s[4:5], v[12:13]
	s_cbranch_execz .LBB3_30
; %bb.29:
	v_add_f64_e32 v[8:9], 0x3e7ad7f29abcaf48, v[12:13]
	s_delay_alu instid0(VALU_DEP_1) | instskip(NEXT) | instid1(VALU_DEP_1)
	v_div_scale_f64 v[12:13], null, v[8:9], v[8:9], s[4:5]
	v_rcp_f64_e32 v[14:15], v[12:13]
	v_nop
	s_delay_alu instid0(TRANS32_DEP_1) | instskip(NEXT) | instid1(VALU_DEP_1)
	v_fma_f64 v[16:17], -v[12:13], v[14:15], 1.0
	v_fmac_f64_e32 v[14:15], v[14:15], v[16:17]
	s_delay_alu instid0(VALU_DEP_1) | instskip(NEXT) | instid1(VALU_DEP_1)
	v_fma_f64 v[16:17], -v[12:13], v[14:15], 1.0
	v_fmac_f64_e32 v[14:15], v[14:15], v[16:17]
	v_div_scale_f64 v[16:17], vcc_lo, s[4:5], v[8:9], s[4:5]
	s_delay_alu instid0(VALU_DEP_1) | instskip(NEXT) | instid1(VALU_DEP_1)
	v_mul_f64_e32 v[20:21], v[16:17], v[14:15]
	v_fma_f64 v[12:13], -v[12:13], v[20:21], v[16:17]
	s_delay_alu instid0(VALU_DEP_1) | instskip(NEXT) | instid1(VALU_DEP_1)
	v_div_fmas_f64 v[12:13], v[12:13], v[14:15], v[20:21]
	v_div_fixup_f64 v[8:9], v[12:13], v[8:9], s[4:5]
.LBB3_30:
	s_or_b32 exec_lo, exec_lo, s3
.LBB3_31:
	s_delay_alu instid0(SALU_CYCLE_1) | instskip(SKIP_2) | instid1(VALU_DEP_1)
	s_or_b32 exec_lo, exec_lo, s1
	v_or_b32_e32 v12, 0x300, v0
	s_mov_b32 s1, exec_lo
	v_cmpx_gt_i32_e64 s10, v12
	s_cbranch_execnz .LBB3_38
; %bb.32:
	s_or_b32 exec_lo, exec_lo, s1
	s_and_saveexec_b32 s1, s0
	s_delay_alu instid0(SALU_CYCLE_1)
	s_xor_b32 s0, exec_lo, s1
	s_cbranch_execnz .LBB3_41
.LBB3_33:
	s_or_b32 exec_lo, exec_lo, s0
	s_delay_alu instid0(SALU_CYCLE_1)
	s_mov_b32 s0, exec_lo
	v_cmpx_gt_i32_e64 s10, v0
	s_cbranch_execnz .LBB3_42
.LBB3_34:
	s_or_b32 exec_lo, exec_lo, s0
	s_delay_alu instid0(SALU_CYCLE_1)
	s_mov_b32 s0, exec_lo
	v_cmpx_gt_i32_e64 s10, v0
	s_cbranch_execnz .LBB3_43
.LBB3_35:
	s_or_b32 exec_lo, exec_lo, s0
	s_delay_alu instid0(SALU_CYCLE_1)
	s_mov_b32 s0, exec_lo
	v_cmpx_gt_i32_e64 s10, v0
	s_cbranch_execz .LBB3_37
.LBB3_36:
	v_add_nc_u32_e32 v0, s2, v0
	global_store_b64 v0, v[4:5], s[6:7] scale_offset
.LBB3_37:
	s_endpgm
.LBB3_38:
	v_mov_b64_e32 v[4:5], 1.0
	s_mov_b32 s3, exec_lo
	v_cmpx_lt_f64_e32 s[4:5], v[2:3]
	s_cbranch_execz .LBB3_40
; %bb.39:
	v_add_f64_e32 v[2:3], 0x3e7ad7f29abcaf48, v[2:3]
	s_delay_alu instid0(VALU_DEP_1) | instskip(NEXT) | instid1(VALU_DEP_1)
	v_div_scale_f64 v[4:5], null, v[2:3], v[2:3], s[4:5]
	v_rcp_f64_e32 v[12:13], v[4:5]
	v_nop
	s_delay_alu instid0(TRANS32_DEP_1) | instskip(NEXT) | instid1(VALU_DEP_1)
	v_fma_f64 v[14:15], -v[4:5], v[12:13], 1.0
	v_fmac_f64_e32 v[12:13], v[12:13], v[14:15]
	s_delay_alu instid0(VALU_DEP_1) | instskip(NEXT) | instid1(VALU_DEP_1)
	v_fma_f64 v[14:15], -v[4:5], v[12:13], 1.0
	v_fmac_f64_e32 v[12:13], v[12:13], v[14:15]
	v_div_scale_f64 v[14:15], vcc_lo, s[4:5], v[2:3], s[4:5]
	s_delay_alu instid0(VALU_DEP_1) | instskip(NEXT) | instid1(VALU_DEP_1)
	v_mul_f64_e32 v[16:17], v[14:15], v[12:13]
	v_fma_f64 v[4:5], -v[4:5], v[16:17], v[14:15]
	s_delay_alu instid0(VALU_DEP_1) | instskip(NEXT) | instid1(VALU_DEP_1)
	v_div_fmas_f64 v[4:5], v[4:5], v[12:13], v[16:17]
	v_div_fixup_f64 v[4:5], v[4:5], v[2:3], s[4:5]
.LBB3_40:
	s_or_b32 exec_lo, exec_lo, s3
	s_delay_alu instid0(SALU_CYCLE_1) | instskip(SKIP_1) | instid1(SALU_CYCLE_1)
	s_or_b32 exec_lo, exec_lo, s1
	s_and_saveexec_b32 s1, s0
	s_xor_b32 s0, exec_lo, s1
	s_cbranch_execz .LBB3_33
.LBB3_41:
	v_mov_b32_e32 v0, v18
	global_store_b64 v1, v[6:7], s[6:7] scale_offset
	s_wait_xcnt 0x0
	s_or_b32 exec_lo, exec_lo, s0
	s_delay_alu instid0(SALU_CYCLE_1)
	s_mov_b32 s0, exec_lo
	v_cmpx_gt_i32_e64 s10, v0
	s_cbranch_execz .LBB3_34
.LBB3_42:
	v_add_nc_u32_e32 v1, s2, v0
	v_add_nc_u32_e32 v0, 0x100, v0
	global_store_b64 v1, v[10:11], s[6:7] scale_offset
	s_wait_xcnt 0x0
	s_or_b32 exec_lo, exec_lo, s0
	s_delay_alu instid0(SALU_CYCLE_1)
	s_mov_b32 s0, exec_lo
	v_cmpx_gt_i32_e64 s10, v0
	s_cbranch_execz .LBB3_35
.LBB3_43:
	v_add_nc_u32_e32 v1, s2, v0
	v_add_nc_u32_e32 v0, 0x100, v0
	global_store_b64 v1, v[8:9], s[6:7] scale_offset
	s_wait_xcnt 0x0
	s_or_b32 exec_lo, exec_lo, s0
	s_delay_alu instid0(SALU_CYCLE_1)
	s_mov_b32 s0, exec_lo
	v_cmpx_gt_i32_e64 s10, v0
	s_cbranch_execnz .LBB3_36
	s_branch .LBB3_37
	.section	.rodata,"a",@progbits
	.p2align	6, 0x0
	.amdhsa_kernel _ZN2at6native29vectorized_elementwise_kernelILi2EZZZNS0_12_GLOBAL__N_124renorm_scale_factor_implERNS_18TensorIteratorBaseEdENKUlvE_clEvENKUlvE_clEvEUldE_St5arrayIPcLm2EEEEviT0_T1_
		.amdhsa_group_segment_fixed_size 0
		.amdhsa_private_segment_fixed_size 0
		.amdhsa_kernarg_size 32
		.amdhsa_user_sgpr_count 2
		.amdhsa_user_sgpr_dispatch_ptr 0
		.amdhsa_user_sgpr_queue_ptr 0
		.amdhsa_user_sgpr_kernarg_segment_ptr 1
		.amdhsa_user_sgpr_dispatch_id 0
		.amdhsa_user_sgpr_kernarg_preload_length 0
		.amdhsa_user_sgpr_kernarg_preload_offset 0
		.amdhsa_user_sgpr_private_segment_size 0
		.amdhsa_wavefront_size32 1
		.amdhsa_uses_dynamic_stack 0
		.amdhsa_enable_private_segment 0
		.amdhsa_system_sgpr_workgroup_id_x 1
		.amdhsa_system_sgpr_workgroup_id_y 0
		.amdhsa_system_sgpr_workgroup_id_z 0
		.amdhsa_system_sgpr_workgroup_info 0
		.amdhsa_system_vgpr_workitem_id 0
		.amdhsa_next_free_vgpr 24
		.amdhsa_next_free_sgpr 14
		.amdhsa_named_barrier_count 0
		.amdhsa_reserve_vcc 1
		.amdhsa_float_round_mode_32 0
		.amdhsa_float_round_mode_16_64 0
		.amdhsa_float_denorm_mode_32 3
		.amdhsa_float_denorm_mode_16_64 3
		.amdhsa_fp16_overflow 0
		.amdhsa_memory_ordered 1
		.amdhsa_forward_progress 1
		.amdhsa_inst_pref_size 15
		.amdhsa_round_robin_scheduling 0
		.amdhsa_exception_fp_ieee_invalid_op 0
		.amdhsa_exception_fp_denorm_src 0
		.amdhsa_exception_fp_ieee_div_zero 0
		.amdhsa_exception_fp_ieee_overflow 0
		.amdhsa_exception_fp_ieee_underflow 0
		.amdhsa_exception_fp_ieee_inexact 0
		.amdhsa_exception_int_div_zero 0
	.end_amdhsa_kernel
	.section	.text._ZN2at6native29vectorized_elementwise_kernelILi2EZZZNS0_12_GLOBAL__N_124renorm_scale_factor_implERNS_18TensorIteratorBaseEdENKUlvE_clEvENKUlvE_clEvEUldE_St5arrayIPcLm2EEEEviT0_T1_,"axG",@progbits,_ZN2at6native29vectorized_elementwise_kernelILi2EZZZNS0_12_GLOBAL__N_124renorm_scale_factor_implERNS_18TensorIteratorBaseEdENKUlvE_clEvENKUlvE_clEvEUldE_St5arrayIPcLm2EEEEviT0_T1_,comdat
.Lfunc_end3:
	.size	_ZN2at6native29vectorized_elementwise_kernelILi2EZZZNS0_12_GLOBAL__N_124renorm_scale_factor_implERNS_18TensorIteratorBaseEdENKUlvE_clEvENKUlvE_clEvEUldE_St5arrayIPcLm2EEEEviT0_T1_, .Lfunc_end3-_ZN2at6native29vectorized_elementwise_kernelILi2EZZZNS0_12_GLOBAL__N_124renorm_scale_factor_implERNS_18TensorIteratorBaseEdENKUlvE_clEvENKUlvE_clEvEUldE_St5arrayIPcLm2EEEEviT0_T1_
                                        ; -- End function
	.set _ZN2at6native29vectorized_elementwise_kernelILi2EZZZNS0_12_GLOBAL__N_124renorm_scale_factor_implERNS_18TensorIteratorBaseEdENKUlvE_clEvENKUlvE_clEvEUldE_St5arrayIPcLm2EEEEviT0_T1_.num_vgpr, 24
	.set _ZN2at6native29vectorized_elementwise_kernelILi2EZZZNS0_12_GLOBAL__N_124renorm_scale_factor_implERNS_18TensorIteratorBaseEdENKUlvE_clEvENKUlvE_clEvEUldE_St5arrayIPcLm2EEEEviT0_T1_.num_agpr, 0
	.set _ZN2at6native29vectorized_elementwise_kernelILi2EZZZNS0_12_GLOBAL__N_124renorm_scale_factor_implERNS_18TensorIteratorBaseEdENKUlvE_clEvENKUlvE_clEvEUldE_St5arrayIPcLm2EEEEviT0_T1_.numbered_sgpr, 14
	.set _ZN2at6native29vectorized_elementwise_kernelILi2EZZZNS0_12_GLOBAL__N_124renorm_scale_factor_implERNS_18TensorIteratorBaseEdENKUlvE_clEvENKUlvE_clEvEUldE_St5arrayIPcLm2EEEEviT0_T1_.num_named_barrier, 0
	.set _ZN2at6native29vectorized_elementwise_kernelILi2EZZZNS0_12_GLOBAL__N_124renorm_scale_factor_implERNS_18TensorIteratorBaseEdENKUlvE_clEvENKUlvE_clEvEUldE_St5arrayIPcLm2EEEEviT0_T1_.private_seg_size, 0
	.set _ZN2at6native29vectorized_elementwise_kernelILi2EZZZNS0_12_GLOBAL__N_124renorm_scale_factor_implERNS_18TensorIteratorBaseEdENKUlvE_clEvENKUlvE_clEvEUldE_St5arrayIPcLm2EEEEviT0_T1_.uses_vcc, 1
	.set _ZN2at6native29vectorized_elementwise_kernelILi2EZZZNS0_12_GLOBAL__N_124renorm_scale_factor_implERNS_18TensorIteratorBaseEdENKUlvE_clEvENKUlvE_clEvEUldE_St5arrayIPcLm2EEEEviT0_T1_.uses_flat_scratch, 0
	.set _ZN2at6native29vectorized_elementwise_kernelILi2EZZZNS0_12_GLOBAL__N_124renorm_scale_factor_implERNS_18TensorIteratorBaseEdENKUlvE_clEvENKUlvE_clEvEUldE_St5arrayIPcLm2EEEEviT0_T1_.has_dyn_sized_stack, 0
	.set _ZN2at6native29vectorized_elementwise_kernelILi2EZZZNS0_12_GLOBAL__N_124renorm_scale_factor_implERNS_18TensorIteratorBaseEdENKUlvE_clEvENKUlvE_clEvEUldE_St5arrayIPcLm2EEEEviT0_T1_.has_recursion, 0
	.set _ZN2at6native29vectorized_elementwise_kernelILi2EZZZNS0_12_GLOBAL__N_124renorm_scale_factor_implERNS_18TensorIteratorBaseEdENKUlvE_clEvENKUlvE_clEvEUldE_St5arrayIPcLm2EEEEviT0_T1_.has_indirect_call, 0
	.section	.AMDGPU.csdata,"",@progbits
; Kernel info:
; codeLenInByte = 1920
; TotalNumSgprs: 16
; NumVgprs: 24
; ScratchSize: 0
; MemoryBound: 0
; FloatMode: 240
; IeeeMode: 1
; LDSByteSize: 0 bytes/workgroup (compile time only)
; SGPRBlocks: 0
; VGPRBlocks: 1
; NumSGPRsForWavesPerEU: 16
; NumVGPRsForWavesPerEU: 24
; NamedBarCnt: 0
; Occupancy: 16
; WaveLimiterHint : 1
; COMPUTE_PGM_RSRC2:SCRATCH_EN: 0
; COMPUTE_PGM_RSRC2:USER_SGPR: 2
; COMPUTE_PGM_RSRC2:TRAP_HANDLER: 0
; COMPUTE_PGM_RSRC2:TGID_X_EN: 1
; COMPUTE_PGM_RSRC2:TGID_Y_EN: 0
; COMPUTE_PGM_RSRC2:TGID_Z_EN: 0
; COMPUTE_PGM_RSRC2:TIDIG_COMP_CNT: 0
	.section	.text._ZN2at6native27unrolled_elementwise_kernelIZZZNS0_12_GLOBAL__N_124renorm_scale_factor_implERNS_18TensorIteratorBaseEdENKUlvE_clEvENKUlvE_clEvEUldE_St5arrayIPcLm2EELi4E23TrivialOffsetCalculatorILi1EjESC_NS0_6memory15LoadWithoutCastENSD_16StoreWithoutCastEEEviT_T0_T2_T3_T4_T5_,"axG",@progbits,_ZN2at6native27unrolled_elementwise_kernelIZZZNS0_12_GLOBAL__N_124renorm_scale_factor_implERNS_18TensorIteratorBaseEdENKUlvE_clEvENKUlvE_clEvEUldE_St5arrayIPcLm2EELi4E23TrivialOffsetCalculatorILi1EjESC_NS0_6memory15LoadWithoutCastENSD_16StoreWithoutCastEEEviT_T0_T2_T3_T4_T5_,comdat
	.globl	_ZN2at6native27unrolled_elementwise_kernelIZZZNS0_12_GLOBAL__N_124renorm_scale_factor_implERNS_18TensorIteratorBaseEdENKUlvE_clEvENKUlvE_clEvEUldE_St5arrayIPcLm2EELi4E23TrivialOffsetCalculatorILi1EjESC_NS0_6memory15LoadWithoutCastENSD_16StoreWithoutCastEEEviT_T0_T2_T3_T4_T5_ ; -- Begin function _ZN2at6native27unrolled_elementwise_kernelIZZZNS0_12_GLOBAL__N_124renorm_scale_factor_implERNS_18TensorIteratorBaseEdENKUlvE_clEvENKUlvE_clEvEUldE_St5arrayIPcLm2EELi4E23TrivialOffsetCalculatorILi1EjESC_NS0_6memory15LoadWithoutCastENSD_16StoreWithoutCastEEEviT_T0_T2_T3_T4_T5_
	.p2align	8
	.type	_ZN2at6native27unrolled_elementwise_kernelIZZZNS0_12_GLOBAL__N_124renorm_scale_factor_implERNS_18TensorIteratorBaseEdENKUlvE_clEvENKUlvE_clEvEUldE_St5arrayIPcLm2EELi4E23TrivialOffsetCalculatorILi1EjESC_NS0_6memory15LoadWithoutCastENSD_16StoreWithoutCastEEEviT_T0_T2_T3_T4_T5_,@function
_ZN2at6native27unrolled_elementwise_kernelIZZZNS0_12_GLOBAL__N_124renorm_scale_factor_implERNS_18TensorIteratorBaseEdENKUlvE_clEvENKUlvE_clEvEUldE_St5arrayIPcLm2EELi4E23TrivialOffsetCalculatorILi1EjESC_NS0_6memory15LoadWithoutCastENSD_16StoreWithoutCastEEEviT_T0_T2_T3_T4_T5_: ; @_ZN2at6native27unrolled_elementwise_kernelIZZZNS0_12_GLOBAL__N_124renorm_scale_factor_implERNS_18TensorIteratorBaseEdENKUlvE_clEvENKUlvE_clEvEUldE_St5arrayIPcLm2EELi4E23TrivialOffsetCalculatorILi1EjESC_NS0_6memory15LoadWithoutCastENSD_16StoreWithoutCastEEEviT_T0_T2_T3_T4_T5_
; %bb.0:
	s_clause 0x1
	s_load_b32 s2, s[0:1], 0x0
	s_load_b64 s[8:9], s[0:1], 0x18
	s_bfe_u32 s3, ttmp6, 0x4000c
	s_and_b32 s4, ttmp6, 15
	s_add_co_i32 s3, s3, 1
	s_getreg_b32 s5, hwreg(HW_REG_IB_STS2, 6, 4)
	s_mul_i32 s3, ttmp9, s3
	v_mov_b64_e32 v[14:15], 0
	s_add_co_i32 s4, s4, s3
	s_cmp_eq_u32 s5, 0
	v_mov_b64_e32 v[16:17], 0
	s_cselect_b32 s3, ttmp9, s4
	v_or_b32_e32 v1, 0x100, v0
	s_lshl_b32 s3, s3, 10
	s_delay_alu instid0(SALU_CYCLE_1) | instskip(SKIP_2) | instid1(SALU_CYCLE_1)
	v_dual_mov_b32 v4, v0 :: v_dual_bitop2_b32 v18, s3, v0 bitop3:0x54
	s_wait_kmcnt 0x0
	s_sub_co_i32 s10, s2, s3
	v_cmp_gt_i32_e64 s2, s10, v0
	s_and_saveexec_b32 s4, s2
	s_cbranch_execz .LBB4_2
; %bb.1:
	global_load_b64 v[16:17], v18, s[8:9] scale_offset
	v_or_b32_e32 v4, 0x100, v0
.LBB4_2:
	s_wait_xcnt 0x0
	s_or_b32 exec_lo, exec_lo, s4
	s_load_b128 s[4:7], s[0:1], 0x8
	s_wait_xcnt 0x0
	s_mov_b32 s0, exec_lo
	v_cmpx_gt_i32_e64 s10, v4
	s_cbranch_execz .LBB4_4
; %bb.3:
	v_add_nc_u32_e32 v2, s3, v4
	v_add_nc_u32_e32 v4, 0x100, v4
	global_load_b64 v[14:15], v2, s[8:9] scale_offset
.LBB4_4:
	s_wait_xcnt 0x0
	s_or_b32 exec_lo, exec_lo, s0
	v_mov_b64_e32 v[2:3], 0
	v_mov_b64_e32 v[12:13], 0
	s_mov_b32 s0, exec_lo
	v_cmpx_gt_i32_e64 s10, v4
	s_cbranch_execz .LBB4_6
; %bb.5:
	v_add_nc_u32_e32 v5, s3, v4
	v_add_nc_u32_e32 v4, 0x100, v4
	global_load_b64 v[12:13], v5, s[8:9] scale_offset
.LBB4_6:
	s_wait_xcnt 0x0
	s_or_b32 exec_lo, exec_lo, s0
	s_delay_alu instid0(SALU_CYCLE_1)
	s_mov_b32 s0, exec_lo
	v_cmpx_gt_i32_e64 s10, v4
	s_cbranch_execz .LBB4_8
; %bb.7:
	v_add_nc_u32_e32 v2, s3, v4
	global_load_b64 v[2:3], v2, s[8:9] scale_offset
.LBB4_8:
	s_wait_xcnt 0x0
	s_or_b32 exec_lo, exec_lo, s0
	v_mov_b32_e32 v6, 0
	s_delay_alu instid0(VALU_DEP_1)
	v_dual_mov_b32 v7, v6 :: v_dual_mov_b32 v10, v6
	v_dual_mov_b32 v11, v6 :: v_dual_mov_b32 v8, v6
	;; [unrolled: 1-line block ×3, first 2 shown]
	v_mov_b32_e32 v5, v6
	s_and_saveexec_b32 s0, s2
	s_cbranch_execz .LBB4_12
; %bb.9:
	v_mov_b64_e32 v[6:7], 1.0
	s_mov_b32 s1, exec_lo
	s_wait_loadcnt 0x0
	s_wait_kmcnt 0x0
	v_cmpx_lt_f64_e32 s[4:5], v[16:17]
	s_cbranch_execz .LBB4_11
; %bb.10:
	v_add_f64_e32 v[4:5], 0x3e7ad7f29abcaf48, v[16:17]
	s_delay_alu instid0(VALU_DEP_1) | instskip(NEXT) | instid1(VALU_DEP_1)
	v_div_scale_f64 v[6:7], null, v[4:5], v[4:5], s[4:5]
	v_rcp_f64_e32 v[8:9], v[6:7]
	v_nop
	s_delay_alu instid0(TRANS32_DEP_1) | instskip(NEXT) | instid1(VALU_DEP_1)
	v_fma_f64 v[10:11], -v[6:7], v[8:9], 1.0
	v_fmac_f64_e32 v[8:9], v[8:9], v[10:11]
	s_delay_alu instid0(VALU_DEP_1) | instskip(NEXT) | instid1(VALU_DEP_1)
	v_fma_f64 v[10:11], -v[6:7], v[8:9], 1.0
	v_fmac_f64_e32 v[8:9], v[8:9], v[10:11]
	v_div_scale_f64 v[10:11], vcc_lo, s[4:5], v[4:5], s[4:5]
	s_delay_alu instid0(VALU_DEP_1) | instskip(NEXT) | instid1(VALU_DEP_1)
	v_mul_f64_e32 v[16:17], v[10:11], v[8:9]
	v_fma_f64 v[6:7], -v[6:7], v[16:17], v[10:11]
	s_delay_alu instid0(VALU_DEP_1) | instskip(NEXT) | instid1(VALU_DEP_1)
	v_div_fmas_f64 v[6:7], v[6:7], v[8:9], v[16:17]
	v_div_fixup_f64 v[6:7], v[6:7], v[4:5], s[4:5]
.LBB4_11:
	s_or_b32 exec_lo, exec_lo, s1
	v_mov_b32_e32 v10, 0
	s_delay_alu instid0(VALU_DEP_1)
	v_dual_mov_b32 v11, v10 :: v_dual_mov_b32 v8, v10
	v_dual_mov_b32 v9, v10 :: v_dual_mov_b32 v4, v10
	v_mov_b32_e32 v5, v10
.LBB4_12:
	s_or_b32 exec_lo, exec_lo, s0
	s_delay_alu instid0(SALU_CYCLE_1)
	s_mov_b32 s0, exec_lo
	v_cmpx_gt_i32_e64 s10, v1
	s_cbranch_execz .LBB4_16
; %bb.13:
	v_mov_b64_e32 v[10:11], 1.0
	s_mov_b32 s1, exec_lo
	s_wait_loadcnt 0x0
	s_wait_kmcnt 0x0
	v_cmpx_lt_f64_e32 s[4:5], v[14:15]
	s_cbranch_execz .LBB4_15
; %bb.14:
	v_add_f64_e32 v[10:11], 0x3e7ad7f29abcaf48, v[14:15]
	s_delay_alu instid0(VALU_DEP_1) | instskip(NEXT) | instid1(VALU_DEP_1)
	v_div_scale_f64 v[14:15], null, v[10:11], v[10:11], s[4:5]
	v_rcp_f64_e32 v[16:17], v[14:15]
	v_nop
	s_delay_alu instid0(TRANS32_DEP_1) | instskip(NEXT) | instid1(VALU_DEP_1)
	v_fma_f64 v[20:21], -v[14:15], v[16:17], 1.0
	v_fmac_f64_e32 v[16:17], v[16:17], v[20:21]
	s_delay_alu instid0(VALU_DEP_1) | instskip(NEXT) | instid1(VALU_DEP_1)
	v_fma_f64 v[20:21], -v[14:15], v[16:17], 1.0
	v_fmac_f64_e32 v[16:17], v[16:17], v[20:21]
	v_div_scale_f64 v[20:21], vcc_lo, s[4:5], v[10:11], s[4:5]
	s_delay_alu instid0(VALU_DEP_1) | instskip(NEXT) | instid1(VALU_DEP_1)
	v_mul_f64_e32 v[22:23], v[20:21], v[16:17]
	v_fma_f64 v[14:15], -v[14:15], v[22:23], v[20:21]
	s_delay_alu instid0(VALU_DEP_1) | instskip(NEXT) | instid1(VALU_DEP_1)
	v_div_fmas_f64 v[14:15], v[14:15], v[16:17], v[22:23]
	v_div_fixup_f64 v[10:11], v[14:15], v[10:11], s[4:5]
.LBB4_15:
	s_or_b32 exec_lo, exec_lo, s1
.LBB4_16:
	s_delay_alu instid0(SALU_CYCLE_1) | instskip(SKIP_3) | instid1(VALU_DEP_1)
	s_or_b32 exec_lo, exec_lo, s0
	s_wait_loadcnt 0x0
	v_or_b32_e32 v14, 0x200, v0
	s_mov_b32 s0, exec_lo
	v_cmpx_gt_i32_e64 s10, v14
	s_cbranch_execz .LBB4_20
; %bb.17:
	v_mov_b64_e32 v[8:9], 1.0
	s_mov_b32 s1, exec_lo
	s_wait_kmcnt 0x0
	v_cmpx_lt_f64_e32 s[4:5], v[12:13]
	s_cbranch_execz .LBB4_19
; %bb.18:
	v_add_f64_e32 v[8:9], 0x3e7ad7f29abcaf48, v[12:13]
	s_delay_alu instid0(VALU_DEP_1) | instskip(NEXT) | instid1(VALU_DEP_1)
	v_div_scale_f64 v[12:13], null, v[8:9], v[8:9], s[4:5]
	v_rcp_f64_e32 v[14:15], v[12:13]
	v_nop
	s_delay_alu instid0(TRANS32_DEP_1) | instskip(NEXT) | instid1(VALU_DEP_1)
	v_fma_f64 v[16:17], -v[12:13], v[14:15], 1.0
	v_fmac_f64_e32 v[14:15], v[14:15], v[16:17]
	s_delay_alu instid0(VALU_DEP_1) | instskip(NEXT) | instid1(VALU_DEP_1)
	v_fma_f64 v[16:17], -v[12:13], v[14:15], 1.0
	v_fmac_f64_e32 v[14:15], v[14:15], v[16:17]
	v_div_scale_f64 v[16:17], vcc_lo, s[4:5], v[8:9], s[4:5]
	s_delay_alu instid0(VALU_DEP_1) | instskip(NEXT) | instid1(VALU_DEP_1)
	v_mul_f64_e32 v[20:21], v[16:17], v[14:15]
	v_fma_f64 v[12:13], -v[12:13], v[20:21], v[16:17]
	s_delay_alu instid0(VALU_DEP_1) | instskip(NEXT) | instid1(VALU_DEP_1)
	v_div_fmas_f64 v[12:13], v[12:13], v[14:15], v[20:21]
	v_div_fixup_f64 v[8:9], v[12:13], v[8:9], s[4:5]
.LBB4_19:
	s_or_b32 exec_lo, exec_lo, s1
.LBB4_20:
	s_delay_alu instid0(SALU_CYCLE_1) | instskip(SKIP_2) | instid1(VALU_DEP_1)
	s_or_b32 exec_lo, exec_lo, s0
	v_or_b32_e32 v12, 0x300, v0
	s_mov_b32 s0, exec_lo
	v_cmpx_gt_i32_e64 s10, v12
	s_cbranch_execnz .LBB4_26
; %bb.21:
	s_or_b32 exec_lo, exec_lo, s0
	s_and_saveexec_b32 s0, s2
	s_delay_alu instid0(SALU_CYCLE_1)
	s_xor_b32 s0, exec_lo, s0
	s_cbranch_execnz .LBB4_29
.LBB4_22:
	s_or_b32 exec_lo, exec_lo, s0
	s_delay_alu instid0(SALU_CYCLE_1)
	s_mov_b32 s0, exec_lo
	v_cmpx_gt_i32_e64 s10, v0
	s_cbranch_execnz .LBB4_30
.LBB4_23:
	s_or_b32 exec_lo, exec_lo, s0
	s_delay_alu instid0(SALU_CYCLE_1)
	s_mov_b32 s0, exec_lo
	v_cmpx_gt_i32_e64 s10, v0
	s_cbranch_execnz .LBB4_31
.LBB4_24:
	s_or_b32 exec_lo, exec_lo, s0
	s_delay_alu instid0(SALU_CYCLE_1)
	s_mov_b32 s0, exec_lo
	v_cmpx_gt_i32_e64 s10, v0
	s_cbranch_execnz .LBB4_32
.LBB4_25:
	s_endpgm
.LBB4_26:
	v_mov_b64_e32 v[4:5], 1.0
	s_mov_b32 s1, exec_lo
	s_wait_kmcnt 0x0
	v_cmpx_lt_f64_e32 s[4:5], v[2:3]
	s_cbranch_execz .LBB4_28
; %bb.27:
	v_add_f64_e32 v[2:3], 0x3e7ad7f29abcaf48, v[2:3]
	s_delay_alu instid0(VALU_DEP_1) | instskip(NEXT) | instid1(VALU_DEP_1)
	v_div_scale_f64 v[4:5], null, v[2:3], v[2:3], s[4:5]
	v_rcp_f64_e32 v[12:13], v[4:5]
	v_nop
	s_delay_alu instid0(TRANS32_DEP_1) | instskip(NEXT) | instid1(VALU_DEP_1)
	v_fma_f64 v[14:15], -v[4:5], v[12:13], 1.0
	v_fmac_f64_e32 v[12:13], v[12:13], v[14:15]
	s_delay_alu instid0(VALU_DEP_1) | instskip(NEXT) | instid1(VALU_DEP_1)
	v_fma_f64 v[14:15], -v[4:5], v[12:13], 1.0
	v_fmac_f64_e32 v[12:13], v[12:13], v[14:15]
	v_div_scale_f64 v[14:15], vcc_lo, s[4:5], v[2:3], s[4:5]
	s_delay_alu instid0(VALU_DEP_1) | instskip(NEXT) | instid1(VALU_DEP_1)
	v_mul_f64_e32 v[16:17], v[14:15], v[12:13]
	v_fma_f64 v[4:5], -v[4:5], v[16:17], v[14:15]
	s_delay_alu instid0(VALU_DEP_1) | instskip(NEXT) | instid1(VALU_DEP_1)
	v_div_fmas_f64 v[4:5], v[4:5], v[12:13], v[16:17]
	v_div_fixup_f64 v[4:5], v[4:5], v[2:3], s[4:5]
.LBB4_28:
	s_or_b32 exec_lo, exec_lo, s1
	s_delay_alu instid0(SALU_CYCLE_1) | instskip(SKIP_1) | instid1(SALU_CYCLE_1)
	s_or_b32 exec_lo, exec_lo, s0
	s_and_saveexec_b32 s0, s2
	s_xor_b32 s0, exec_lo, s0
	s_cbranch_execz .LBB4_22
.LBB4_29:
	v_mov_b32_e32 v0, v1
	s_wait_kmcnt 0x0
	global_store_b64 v18, v[6:7], s[6:7] scale_offset
	s_wait_xcnt 0x0
	s_or_b32 exec_lo, exec_lo, s0
	s_delay_alu instid0(SALU_CYCLE_1)
	s_mov_b32 s0, exec_lo
	v_cmpx_gt_i32_e64 s10, v0
	s_cbranch_execz .LBB4_23
.LBB4_30:
	v_add_nc_u32_e32 v1, 0x100, v0
	s_delay_alu instid0(VALU_DEP_1) | instskip(SKIP_4) | instid1(SALU_CYCLE_1)
	v_dual_add_nc_u32 v2, s3, v0 :: v_dual_mov_b32 v0, v1
	s_wait_kmcnt 0x0
	global_store_b64 v2, v[10:11], s[6:7] scale_offset
	s_wait_xcnt 0x0
	s_or_b32 exec_lo, exec_lo, s0
	s_mov_b32 s0, exec_lo
	v_cmpx_gt_i32_e64 s10, v0
	s_cbranch_execz .LBB4_24
.LBB4_31:
	v_add_nc_u32_e32 v1, 0x100, v0
	s_delay_alu instid0(VALU_DEP_1) | instskip(SKIP_4) | instid1(SALU_CYCLE_1)
	v_dual_add_nc_u32 v2, s3, v0 :: v_dual_mov_b32 v0, v1
	s_wait_kmcnt 0x0
	global_store_b64 v2, v[8:9], s[6:7] scale_offset
	s_wait_xcnt 0x0
	s_or_b32 exec_lo, exec_lo, s0
	s_mov_b32 s0, exec_lo
	v_cmpx_gt_i32_e64 s10, v0
	s_cbranch_execz .LBB4_25
.LBB4_32:
	v_add_nc_u32_e32 v0, s3, v0
	s_wait_kmcnt 0x0
	global_store_b64 v0, v[4:5], s[6:7] scale_offset
	s_endpgm
	.section	.rodata,"a",@progbits
	.p2align	6, 0x0
	.amdhsa_kernel _ZN2at6native27unrolled_elementwise_kernelIZZZNS0_12_GLOBAL__N_124renorm_scale_factor_implERNS_18TensorIteratorBaseEdENKUlvE_clEvENKUlvE_clEvEUldE_St5arrayIPcLm2EELi4E23TrivialOffsetCalculatorILi1EjESC_NS0_6memory15LoadWithoutCastENSD_16StoreWithoutCastEEEviT_T0_T2_T3_T4_T5_
		.amdhsa_group_segment_fixed_size 0
		.amdhsa_private_segment_fixed_size 0
		.amdhsa_kernarg_size 36
		.amdhsa_user_sgpr_count 2
		.amdhsa_user_sgpr_dispatch_ptr 0
		.amdhsa_user_sgpr_queue_ptr 0
		.amdhsa_user_sgpr_kernarg_segment_ptr 1
		.amdhsa_user_sgpr_dispatch_id 0
		.amdhsa_user_sgpr_kernarg_preload_length 0
		.amdhsa_user_sgpr_kernarg_preload_offset 0
		.amdhsa_user_sgpr_private_segment_size 0
		.amdhsa_wavefront_size32 1
		.amdhsa_uses_dynamic_stack 0
		.amdhsa_enable_private_segment 0
		.amdhsa_system_sgpr_workgroup_id_x 1
		.amdhsa_system_sgpr_workgroup_id_y 0
		.amdhsa_system_sgpr_workgroup_id_z 0
		.amdhsa_system_sgpr_workgroup_info 0
		.amdhsa_system_vgpr_workitem_id 0
		.amdhsa_next_free_vgpr 24
		.amdhsa_next_free_sgpr 11
		.amdhsa_named_barrier_count 0
		.amdhsa_reserve_vcc 1
		.amdhsa_float_round_mode_32 0
		.amdhsa_float_round_mode_16_64 0
		.amdhsa_float_denorm_mode_32 3
		.amdhsa_float_denorm_mode_16_64 3
		.amdhsa_fp16_overflow 0
		.amdhsa_memory_ordered 1
		.amdhsa_forward_progress 1
		.amdhsa_inst_pref_size 11
		.amdhsa_round_robin_scheduling 0
		.amdhsa_exception_fp_ieee_invalid_op 0
		.amdhsa_exception_fp_denorm_src 0
		.amdhsa_exception_fp_ieee_div_zero 0
		.amdhsa_exception_fp_ieee_overflow 0
		.amdhsa_exception_fp_ieee_underflow 0
		.amdhsa_exception_fp_ieee_inexact 0
		.amdhsa_exception_int_div_zero 0
	.end_amdhsa_kernel
	.section	.text._ZN2at6native27unrolled_elementwise_kernelIZZZNS0_12_GLOBAL__N_124renorm_scale_factor_implERNS_18TensorIteratorBaseEdENKUlvE_clEvENKUlvE_clEvEUldE_St5arrayIPcLm2EELi4E23TrivialOffsetCalculatorILi1EjESC_NS0_6memory15LoadWithoutCastENSD_16StoreWithoutCastEEEviT_T0_T2_T3_T4_T5_,"axG",@progbits,_ZN2at6native27unrolled_elementwise_kernelIZZZNS0_12_GLOBAL__N_124renorm_scale_factor_implERNS_18TensorIteratorBaseEdENKUlvE_clEvENKUlvE_clEvEUldE_St5arrayIPcLm2EELi4E23TrivialOffsetCalculatorILi1EjESC_NS0_6memory15LoadWithoutCastENSD_16StoreWithoutCastEEEviT_T0_T2_T3_T4_T5_,comdat
.Lfunc_end4:
	.size	_ZN2at6native27unrolled_elementwise_kernelIZZZNS0_12_GLOBAL__N_124renorm_scale_factor_implERNS_18TensorIteratorBaseEdENKUlvE_clEvENKUlvE_clEvEUldE_St5arrayIPcLm2EELi4E23TrivialOffsetCalculatorILi1EjESC_NS0_6memory15LoadWithoutCastENSD_16StoreWithoutCastEEEviT_T0_T2_T3_T4_T5_, .Lfunc_end4-_ZN2at6native27unrolled_elementwise_kernelIZZZNS0_12_GLOBAL__N_124renorm_scale_factor_implERNS_18TensorIteratorBaseEdENKUlvE_clEvENKUlvE_clEvEUldE_St5arrayIPcLm2EELi4E23TrivialOffsetCalculatorILi1EjESC_NS0_6memory15LoadWithoutCastENSD_16StoreWithoutCastEEEviT_T0_T2_T3_T4_T5_
                                        ; -- End function
	.set _ZN2at6native27unrolled_elementwise_kernelIZZZNS0_12_GLOBAL__N_124renorm_scale_factor_implERNS_18TensorIteratorBaseEdENKUlvE_clEvENKUlvE_clEvEUldE_St5arrayIPcLm2EELi4E23TrivialOffsetCalculatorILi1EjESC_NS0_6memory15LoadWithoutCastENSD_16StoreWithoutCastEEEviT_T0_T2_T3_T4_T5_.num_vgpr, 24
	.set _ZN2at6native27unrolled_elementwise_kernelIZZZNS0_12_GLOBAL__N_124renorm_scale_factor_implERNS_18TensorIteratorBaseEdENKUlvE_clEvENKUlvE_clEvEUldE_St5arrayIPcLm2EELi4E23TrivialOffsetCalculatorILi1EjESC_NS0_6memory15LoadWithoutCastENSD_16StoreWithoutCastEEEviT_T0_T2_T3_T4_T5_.num_agpr, 0
	.set _ZN2at6native27unrolled_elementwise_kernelIZZZNS0_12_GLOBAL__N_124renorm_scale_factor_implERNS_18TensorIteratorBaseEdENKUlvE_clEvENKUlvE_clEvEUldE_St5arrayIPcLm2EELi4E23TrivialOffsetCalculatorILi1EjESC_NS0_6memory15LoadWithoutCastENSD_16StoreWithoutCastEEEviT_T0_T2_T3_T4_T5_.numbered_sgpr, 11
	.set _ZN2at6native27unrolled_elementwise_kernelIZZZNS0_12_GLOBAL__N_124renorm_scale_factor_implERNS_18TensorIteratorBaseEdENKUlvE_clEvENKUlvE_clEvEUldE_St5arrayIPcLm2EELi4E23TrivialOffsetCalculatorILi1EjESC_NS0_6memory15LoadWithoutCastENSD_16StoreWithoutCastEEEviT_T0_T2_T3_T4_T5_.num_named_barrier, 0
	.set _ZN2at6native27unrolled_elementwise_kernelIZZZNS0_12_GLOBAL__N_124renorm_scale_factor_implERNS_18TensorIteratorBaseEdENKUlvE_clEvENKUlvE_clEvEUldE_St5arrayIPcLm2EELi4E23TrivialOffsetCalculatorILi1EjESC_NS0_6memory15LoadWithoutCastENSD_16StoreWithoutCastEEEviT_T0_T2_T3_T4_T5_.private_seg_size, 0
	.set _ZN2at6native27unrolled_elementwise_kernelIZZZNS0_12_GLOBAL__N_124renorm_scale_factor_implERNS_18TensorIteratorBaseEdENKUlvE_clEvENKUlvE_clEvEUldE_St5arrayIPcLm2EELi4E23TrivialOffsetCalculatorILi1EjESC_NS0_6memory15LoadWithoutCastENSD_16StoreWithoutCastEEEviT_T0_T2_T3_T4_T5_.uses_vcc, 1
	.set _ZN2at6native27unrolled_elementwise_kernelIZZZNS0_12_GLOBAL__N_124renorm_scale_factor_implERNS_18TensorIteratorBaseEdENKUlvE_clEvENKUlvE_clEvEUldE_St5arrayIPcLm2EELi4E23TrivialOffsetCalculatorILi1EjESC_NS0_6memory15LoadWithoutCastENSD_16StoreWithoutCastEEEviT_T0_T2_T3_T4_T5_.uses_flat_scratch, 0
	.set _ZN2at6native27unrolled_elementwise_kernelIZZZNS0_12_GLOBAL__N_124renorm_scale_factor_implERNS_18TensorIteratorBaseEdENKUlvE_clEvENKUlvE_clEvEUldE_St5arrayIPcLm2EELi4E23TrivialOffsetCalculatorILi1EjESC_NS0_6memory15LoadWithoutCastENSD_16StoreWithoutCastEEEviT_T0_T2_T3_T4_T5_.has_dyn_sized_stack, 0
	.set _ZN2at6native27unrolled_elementwise_kernelIZZZNS0_12_GLOBAL__N_124renorm_scale_factor_implERNS_18TensorIteratorBaseEdENKUlvE_clEvENKUlvE_clEvEUldE_St5arrayIPcLm2EELi4E23TrivialOffsetCalculatorILi1EjESC_NS0_6memory15LoadWithoutCastENSD_16StoreWithoutCastEEEviT_T0_T2_T3_T4_T5_.has_recursion, 0
	.set _ZN2at6native27unrolled_elementwise_kernelIZZZNS0_12_GLOBAL__N_124renorm_scale_factor_implERNS_18TensorIteratorBaseEdENKUlvE_clEvENKUlvE_clEvEUldE_St5arrayIPcLm2EELi4E23TrivialOffsetCalculatorILi1EjESC_NS0_6memory15LoadWithoutCastENSD_16StoreWithoutCastEEEviT_T0_T2_T3_T4_T5_.has_indirect_call, 0
	.section	.AMDGPU.csdata,"",@progbits
; Kernel info:
; codeLenInByte = 1320
; TotalNumSgprs: 13
; NumVgprs: 24
; ScratchSize: 0
; MemoryBound: 0
; FloatMode: 240
; IeeeMode: 1
; LDSByteSize: 0 bytes/workgroup (compile time only)
; SGPRBlocks: 0
; VGPRBlocks: 1
; NumSGPRsForWavesPerEU: 13
; NumVGPRsForWavesPerEU: 24
; NamedBarCnt: 0
; Occupancy: 16
; WaveLimiterHint : 0
; COMPUTE_PGM_RSRC2:SCRATCH_EN: 0
; COMPUTE_PGM_RSRC2:USER_SGPR: 2
; COMPUTE_PGM_RSRC2:TRAP_HANDLER: 0
; COMPUTE_PGM_RSRC2:TGID_X_EN: 1
; COMPUTE_PGM_RSRC2:TGID_Y_EN: 0
; COMPUTE_PGM_RSRC2:TGID_Z_EN: 0
; COMPUTE_PGM_RSRC2:TIDIG_COMP_CNT: 0
	.section	.text._ZN2at6native32elementwise_kernel_manual_unrollILi128ELi4EZNS0_22gpu_kernel_impl_nocastIZZZNS0_12_GLOBAL__N_124renorm_scale_factor_implERNS_18TensorIteratorBaseEdENKUlvE_clEvENKUlvE_clEvEUldE_EEvS5_RKT_EUlibE_EEviT1_,"axG",@progbits,_ZN2at6native32elementwise_kernel_manual_unrollILi128ELi4EZNS0_22gpu_kernel_impl_nocastIZZZNS0_12_GLOBAL__N_124renorm_scale_factor_implERNS_18TensorIteratorBaseEdENKUlvE_clEvENKUlvE_clEvEUldE_EEvS5_RKT_EUlibE_EEviT1_,comdat
	.globl	_ZN2at6native32elementwise_kernel_manual_unrollILi128ELi4EZNS0_22gpu_kernel_impl_nocastIZZZNS0_12_GLOBAL__N_124renorm_scale_factor_implERNS_18TensorIteratorBaseEdENKUlvE_clEvENKUlvE_clEvEUldE_EEvS5_RKT_EUlibE_EEviT1_ ; -- Begin function _ZN2at6native32elementwise_kernel_manual_unrollILi128ELi4EZNS0_22gpu_kernel_impl_nocastIZZZNS0_12_GLOBAL__N_124renorm_scale_factor_implERNS_18TensorIteratorBaseEdENKUlvE_clEvENKUlvE_clEvEUldE_EEvS5_RKT_EUlibE_EEviT1_
	.p2align	8
	.type	_ZN2at6native32elementwise_kernel_manual_unrollILi128ELi4EZNS0_22gpu_kernel_impl_nocastIZZZNS0_12_GLOBAL__N_124renorm_scale_factor_implERNS_18TensorIteratorBaseEdENKUlvE_clEvENKUlvE_clEvEUldE_EEvS5_RKT_EUlibE_EEviT1_,@function
_ZN2at6native32elementwise_kernel_manual_unrollILi128ELi4EZNS0_22gpu_kernel_impl_nocastIZZZNS0_12_GLOBAL__N_124renorm_scale_factor_implERNS_18TensorIteratorBaseEdENKUlvE_clEvENKUlvE_clEvEUldE_EEvS5_RKT_EUlibE_EEviT1_: ; @_ZN2at6native32elementwise_kernel_manual_unrollILi128ELi4EZNS0_22gpu_kernel_impl_nocastIZZZNS0_12_GLOBAL__N_124renorm_scale_factor_implERNS_18TensorIteratorBaseEdENKUlvE_clEvENKUlvE_clEvEUldE_EEvS5_RKT_EUlibE_EEviT1_
; %bb.0:
	s_clause 0x1
	s_load_b32 s30, s[0:1], 0x8
	s_load_b32 s36, s[0:1], 0x0
	s_bfe_u32 s2, ttmp6, 0x4000c
	s_and_b32 s3, ttmp6, 15
	s_add_co_i32 s2, s2, 1
	s_getreg_b32 s4, hwreg(HW_REG_IB_STS2, 6, 4)
	s_mul_i32 s2, ttmp9, s2
	s_add_nc_u64 s[12:13], s[0:1], 8
	s_add_co_i32 s3, s3, s2
	s_cmp_eq_u32 s4, 0
	s_mov_b32 s19, 0
	s_cselect_b32 s2, ttmp9, s3
	s_wait_xcnt 0x0
	s_mov_b32 s0, exec_lo
	v_lshl_or_b32 v0, s2, 9, v0
	s_delay_alu instid0(VALU_DEP_1) | instskip(SKIP_2) | instid1(SALU_CYCLE_1)
	v_or_b32_e32 v8, 0x180, v0
	s_wait_kmcnt 0x0
	s_add_co_i32 s31, s30, -1
	s_cmp_gt_u32 s31, 1
	s_cselect_b32 s33, -1, 0
	v_cmpx_le_i32_e64 s36, v8
	s_xor_b32 s34, exec_lo, s0
	s_cbranch_execz .LBB5_7
; %bb.1:
	s_clause 0x4
	s_load_b128 s[4:7], s[12:13], 0x4
	s_load_b64 s[16:17], s[12:13], 0x14
	s_load_b64 s[14:15], s[12:13], 0x158
	s_load_b128 s[8:11], s[12:13], 0xc4
	s_load_b128 s[0:3], s[12:13], 0x148
	s_cmp_lg_u32 s30, 0
	s_add_nc_u64 s[22:23], s[12:13], 0xc4
	s_cselect_b32 s38, -1, 0
	s_min_u32 s37, s31, 15
	s_cmp_gt_u32 s30, 1
	s_mov_b32 s21, s19
	s_cselect_b32 s35, -1, 0
	s_wait_kmcnt 0x0
	s_mov_b32 s18, s5
	s_mov_b32 s20, s16
	s_mov_b32 s5, exec_lo
	v_cmpx_gt_i32_e64 s36, v0
	s_cbranch_execz .LBB5_14
; %bb.2:
	s_and_not1_b32 vcc_lo, exec_lo, s33
	s_cbranch_vccnz .LBB5_21
; %bb.3:
	s_and_not1_b32 vcc_lo, exec_lo, s38
	s_cbranch_vccnz .LBB5_81
; %bb.4:
	s_add_co_i32 s16, s37, 1
	s_cmp_eq_u32 s31, 2
	s_cbranch_scc1 .LBB5_83
; %bb.5:
	v_dual_mov_b32 v2, 0 :: v_dual_mov_b32 v3, 0
	v_mov_b32_e32 v1, v0
	s_and_b32 s24, s16, 28
	s_mov_b32 s25, 0
	s_mov_b64 s[26:27], s[12:13]
	s_mov_b64 s[28:29], s[22:23]
.LBB5_6:                                ; =>This Inner Loop Header: Depth=1
	s_clause 0x1
	s_load_b256 s[40:47], s[26:27], 0x4
	s_load_b128 s[56:59], s[26:27], 0x24
	s_load_b256 s[48:55], s[28:29], 0x0
	s_add_co_i32 s25, s25, 4
	s_wait_xcnt 0x0
	s_add_nc_u64 s[26:27], s[26:27], 48
	s_cmp_lg_u32 s24, s25
	s_add_nc_u64 s[28:29], s[28:29], 32
	s_wait_kmcnt 0x0
	v_mul_hi_u32 v4, s41, v1
	s_delay_alu instid0(VALU_DEP_1) | instskip(NEXT) | instid1(VALU_DEP_1)
	v_add_nc_u32_e32 v4, v1, v4
	v_lshrrev_b32_e32 v4, s42, v4
	s_delay_alu instid0(VALU_DEP_1) | instskip(NEXT) | instid1(VALU_DEP_1)
	v_mul_hi_u32 v5, s44, v4
	v_add_nc_u32_e32 v5, v4, v5
	s_delay_alu instid0(VALU_DEP_1) | instskip(NEXT) | instid1(VALU_DEP_1)
	v_lshrrev_b32_e32 v5, s45, v5
	v_mul_hi_u32 v6, s47, v5
	s_delay_alu instid0(VALU_DEP_1) | instskip(SKIP_1) | instid1(VALU_DEP_1)
	v_add_nc_u32_e32 v6, v5, v6
	v_mul_lo_u32 v7, v4, s40
	v_sub_nc_u32_e32 v1, v1, v7
	v_mul_lo_u32 v7, v5, s43
	s_delay_alu instid0(VALU_DEP_4) | instskip(NEXT) | instid1(VALU_DEP_3)
	v_lshrrev_b32_e32 v6, s56, v6
	v_mad_u32 v3, v1, s49, v3
	v_mad_u32 v1, v1, s48, v2
	s_delay_alu instid0(VALU_DEP_4) | instskip(NEXT) | instid1(VALU_DEP_4)
	v_sub_nc_u32_e32 v2, v4, v7
	v_mul_hi_u32 v8, s58, v6
	v_mul_lo_u32 v4, v6, s46
	s_delay_alu instid0(VALU_DEP_3) | instskip(SKIP_1) | instid1(VALU_DEP_4)
	v_mad_u32 v3, v2, s51, v3
	v_mad_u32 v2, v2, s50, v1
	v_add_nc_u32_e32 v7, v6, v8
	s_delay_alu instid0(VALU_DEP_1) | instskip(NEXT) | instid1(VALU_DEP_1)
	v_dual_sub_nc_u32 v4, v5, v4 :: v_dual_lshrrev_b32 v1, s59, v7
	v_mad_u32 v3, v4, s53, v3
	s_delay_alu instid0(VALU_DEP_4) | instskip(NEXT) | instid1(VALU_DEP_3)
	v_mad_u32 v2, v4, s52, v2
	v_mul_lo_u32 v5, v1, s57
	s_delay_alu instid0(VALU_DEP_1) | instskip(NEXT) | instid1(VALU_DEP_1)
	v_sub_nc_u32_e32 v4, v6, v5
	v_mad_u32 v3, v4, s55, v3
	s_delay_alu instid0(VALU_DEP_4)
	v_mad_u32 v2, v4, s54, v2
	s_cbranch_scc1 .LBB5_6
	s_branch .LBB5_84
.LBB5_7:
	s_and_not1_saveexec_b32 s0, s34
	s_cbranch_execz .LBB5_113
.LBB5_8:
	v_cndmask_b32_e64 v6, 0, 1, s33
	s_and_not1_b32 vcc_lo, exec_lo, s33
	s_cbranch_vccnz .LBB5_20
; %bb.9:
	s_cmp_lg_u32 s30, 0
	s_mov_b32 s6, 0
	s_cbranch_scc0 .LBB5_23
; %bb.10:
	s_min_u32 s1, s31, 15
	s_delay_alu instid0(SALU_CYCLE_1)
	s_add_co_i32 s1, s1, 1
	s_cmp_eq_u32 s31, 2
	s_cbranch_scc1 .LBB5_24
; %bb.11:
	v_dual_mov_b32 v2, 0 :: v_dual_mov_b32 v3, 0
	v_mov_b32_e32 v1, v0
	s_and_b32 s0, s1, 28
	s_add_nc_u64 s[2:3], s[12:13], 0xc4
	s_mov_b32 s7, 0
	s_mov_b64 s[4:5], s[12:13]
.LBB5_12:                               ; =>This Inner Loop Header: Depth=1
	s_clause 0x1
	s_load_b256 s[16:23], s[4:5], 0x4
	s_load_b128 s[8:11], s[4:5], 0x24
	s_load_b256 s[36:43], s[2:3], 0x0
	s_add_co_i32 s7, s7, 4
	s_wait_xcnt 0x0
	s_add_nc_u64 s[4:5], s[4:5], 48
	s_cmp_lg_u32 s0, s7
	s_add_nc_u64 s[2:3], s[2:3], 32
	s_wait_kmcnt 0x0
	v_mul_hi_u32 v4, s17, v1
	s_delay_alu instid0(VALU_DEP_1) | instskip(NEXT) | instid1(VALU_DEP_1)
	v_add_nc_u32_e32 v4, v1, v4
	v_lshrrev_b32_e32 v4, s18, v4
	s_delay_alu instid0(VALU_DEP_1) | instskip(NEXT) | instid1(VALU_DEP_1)
	v_mul_hi_u32 v5, s20, v4
	v_add_nc_u32_e32 v5, v4, v5
	s_delay_alu instid0(VALU_DEP_1) | instskip(NEXT) | instid1(VALU_DEP_1)
	v_lshrrev_b32_e32 v5, s21, v5
	v_mul_hi_u32 v7, s23, v5
	s_delay_alu instid0(VALU_DEP_1) | instskip(SKIP_1) | instid1(VALU_DEP_2)
	v_add_nc_u32_e32 v7, v5, v7
	v_mul_lo_u32 v9, v4, s16
	v_lshrrev_b32_e32 v7, s8, v7
	s_delay_alu instid0(VALU_DEP_1) | instskip(NEXT) | instid1(VALU_DEP_3)
	v_mul_hi_u32 v10, s10, v7
	v_sub_nc_u32_e32 v1, v1, v9
	v_mul_lo_u32 v9, v5, s19
	s_delay_alu instid0(VALU_DEP_2) | instskip(SKIP_1) | instid1(VALU_DEP_3)
	v_mad_u32 v3, v1, s37, v3
	v_mad_u32 v1, v1, s36, v2
	v_sub_nc_u32_e32 v2, v4, v9
	v_mul_lo_u32 v4, v7, s22
	v_add_nc_u32_e32 v9, v7, v10
	s_delay_alu instid0(VALU_DEP_3) | instskip(SKIP_1) | instid1(VALU_DEP_3)
	v_mad_u32 v3, v2, s39, v3
	v_mad_u32 v2, v2, s38, v1
	v_dual_sub_nc_u32 v4, v5, v4 :: v_dual_lshrrev_b32 v1, s11, v9
	s_delay_alu instid0(VALU_DEP_1) | instskip(NEXT) | instid1(VALU_DEP_2)
	v_mad_u32 v3, v4, s41, v3
	v_mul_lo_u32 v5, v1, s9
	s_delay_alu instid0(VALU_DEP_4) | instskip(NEXT) | instid1(VALU_DEP_2)
	v_mad_u32 v2, v4, s40, v2
	v_sub_nc_u32_e32 v4, v7, v5
	s_delay_alu instid0(VALU_DEP_1) | instskip(NEXT) | instid1(VALU_DEP_3)
	v_mad_u32 v3, v4, s43, v3
	v_mad_u32 v2, v4, s42, v2
	s_cbranch_scc1 .LBB5_12
; %bb.13:
	s_and_b32 s4, s1, 3
	s_mov_b32 s1, 0
	s_cmp_eq_u32 s4, 0
	s_cbranch_scc0 .LBB5_25
	s_branch .LBB5_27
.LBB5_14:
	s_or_b32 exec_lo, exec_lo, s5
	s_delay_alu instid0(SALU_CYCLE_1)
	s_mov_b32 s5, exec_lo
	v_cmpx_gt_i32_e64 s36, v0
	s_cbranch_execz .LBB5_93
.LBB5_15:
	s_and_not1_b32 vcc_lo, exec_lo, s33
	s_cbranch_vccnz .LBB5_22
; %bb.16:
	s_and_not1_b32 vcc_lo, exec_lo, s38
	s_cbranch_vccnz .LBB5_82
; %bb.17:
	s_add_co_i32 s16, s37, 1
	s_cmp_eq_u32 s31, 2
	s_cbranch_scc1 .LBB5_101
; %bb.18:
	v_dual_mov_b32 v2, 0 :: v_dual_mov_b32 v3, 0
	v_mov_b32_e32 v1, v0
	s_and_b32 s24, s16, 28
	s_mov_b32 s25, 0
	s_mov_b64 s[26:27], s[12:13]
	s_mov_b64 s[28:29], s[22:23]
.LBB5_19:                               ; =>This Inner Loop Header: Depth=1
	s_clause 0x1
	s_load_b256 s[40:47], s[26:27], 0x4
	s_load_b128 s[56:59], s[26:27], 0x24
	s_load_b256 s[48:55], s[28:29], 0x0
	s_add_co_i32 s25, s25, 4
	s_wait_xcnt 0x0
	s_add_nc_u64 s[26:27], s[26:27], 48
	s_cmp_eq_u32 s24, s25
	s_add_nc_u64 s[28:29], s[28:29], 32
	s_wait_kmcnt 0x0
	v_mul_hi_u32 v4, s41, v1
	s_delay_alu instid0(VALU_DEP_1) | instskip(NEXT) | instid1(VALU_DEP_1)
	v_add_nc_u32_e32 v4, v1, v4
	v_lshrrev_b32_e32 v4, s42, v4
	s_delay_alu instid0(VALU_DEP_1) | instskip(NEXT) | instid1(VALU_DEP_1)
	v_mul_hi_u32 v5, s44, v4
	v_add_nc_u32_e32 v5, v4, v5
	s_delay_alu instid0(VALU_DEP_1) | instskip(NEXT) | instid1(VALU_DEP_1)
	v_lshrrev_b32_e32 v5, s45, v5
	v_mul_hi_u32 v6, s47, v5
	s_delay_alu instid0(VALU_DEP_1) | instskip(SKIP_1) | instid1(VALU_DEP_1)
	v_add_nc_u32_e32 v6, v5, v6
	v_mul_lo_u32 v7, v4, s40
	v_sub_nc_u32_e32 v1, v1, v7
	v_mul_lo_u32 v7, v5, s43
	s_delay_alu instid0(VALU_DEP_4) | instskip(NEXT) | instid1(VALU_DEP_3)
	v_lshrrev_b32_e32 v6, s56, v6
	v_mad_u32 v3, v1, s49, v3
	v_mad_u32 v1, v1, s48, v2
	s_delay_alu instid0(VALU_DEP_4) | instskip(NEXT) | instid1(VALU_DEP_4)
	v_sub_nc_u32_e32 v2, v4, v7
	v_mul_hi_u32 v8, s58, v6
	v_mul_lo_u32 v4, v6, s46
	s_delay_alu instid0(VALU_DEP_3) | instskip(SKIP_1) | instid1(VALU_DEP_4)
	v_mad_u32 v3, v2, s51, v3
	v_mad_u32 v2, v2, s50, v1
	v_add_nc_u32_e32 v7, v6, v8
	s_delay_alu instid0(VALU_DEP_1) | instskip(NEXT) | instid1(VALU_DEP_1)
	v_dual_sub_nc_u32 v4, v5, v4 :: v_dual_lshrrev_b32 v1, s59, v7
	v_mad_u32 v3, v4, s53, v3
	s_delay_alu instid0(VALU_DEP_4) | instskip(NEXT) | instid1(VALU_DEP_3)
	v_mad_u32 v2, v4, s52, v2
	v_mul_lo_u32 v5, v1, s57
	s_delay_alu instid0(VALU_DEP_1) | instskip(NEXT) | instid1(VALU_DEP_1)
	v_sub_nc_u32_e32 v4, v6, v5
	v_mad_u32 v3, v4, s55, v3
	s_delay_alu instid0(VALU_DEP_4)
	v_mad_u32 v2, v4, s54, v2
	s_cbranch_scc0 .LBB5_19
	s_branch .LBB5_102
.LBB5_20:
	s_mov_b32 s6, -1
                                        ; implicit-def: $vgpr3
	s_branch .LBB5_27
.LBB5_21:
                                        ; implicit-def: $vgpr3
	s_branch .LBB5_88
.LBB5_22:
                                        ; implicit-def: $vgpr3
	s_branch .LBB5_106
.LBB5_23:
	v_dual_mov_b32 v3, 0 :: v_dual_mov_b32 v2, 0
	s_branch .LBB5_27
.LBB5_24:
	v_mov_b64_e32 v[2:3], 0
	v_mov_b32_e32 v1, v0
	s_mov_b32 s0, 0
	s_and_b32 s4, s1, 3
	s_mov_b32 s1, 0
	s_cmp_eq_u32 s4, 0
	s_cbranch_scc1 .LBB5_27
.LBB5_25:
	s_lshl_b32 s2, s0, 3
	s_mov_b32 s3, s1
	s_mul_u64 s[8:9], s[0:1], 12
	s_add_nc_u64 s[2:3], s[12:13], s[2:3]
	s_delay_alu instid0(SALU_CYCLE_1)
	s_add_nc_u64 s[0:1], s[2:3], 0xc4
	s_add_nc_u64 s[2:3], s[12:13], s[8:9]
.LBB5_26:                               ; =>This Inner Loop Header: Depth=1
	s_load_b96 s[8:10], s[2:3], 0x4
	s_add_co_i32 s4, s4, -1
	s_wait_xcnt 0x0
	s_add_nc_u64 s[2:3], s[2:3], 12
	s_cmp_lg_u32 s4, 0
	s_wait_kmcnt 0x0
	v_mul_hi_u32 v4, s9, v1
	s_delay_alu instid0(VALU_DEP_1) | instskip(NEXT) | instid1(VALU_DEP_1)
	v_add_nc_u32_e32 v4, v1, v4
	v_lshrrev_b32_e32 v4, s10, v4
	s_load_b64 s[10:11], s[0:1], 0x0
	s_wait_xcnt 0x0
	s_add_nc_u64 s[0:1], s[0:1], 8
	s_delay_alu instid0(VALU_DEP_1) | instskip(NEXT) | instid1(VALU_DEP_1)
	v_mul_lo_u32 v5, v4, s8
	v_sub_nc_u32_e32 v1, v1, v5
	s_wait_kmcnt 0x0
	s_delay_alu instid0(VALU_DEP_1)
	v_mad_u32 v3, v1, s11, v3
	v_mad_u32 v2, v1, s10, v2
	v_mov_b32_e32 v1, v4
	s_cbranch_scc1 .LBB5_26
.LBB5_27:
	s_and_not1_b32 vcc_lo, exec_lo, s6
	s_cbranch_vccnz .LBB5_30
; %bb.28:
	s_clause 0x1
	s_load_b96 s[0:2], s[12:13], 0x4
	s_load_b64 s[4:5], s[12:13], 0xc4
	s_cmp_lt_u32 s30, 2
	s_wait_kmcnt 0x0
	v_mul_hi_u32 v1, s1, v0
	s_delay_alu instid0(VALU_DEP_1) | instskip(NEXT) | instid1(VALU_DEP_1)
	v_add_nc_u32_e32 v1, v0, v1
	v_lshrrev_b32_e32 v1, s2, v1
	s_delay_alu instid0(VALU_DEP_1) | instskip(NEXT) | instid1(VALU_DEP_1)
	v_mul_lo_u32 v2, v1, s0
	v_sub_nc_u32_e32 v2, v0, v2
	s_delay_alu instid0(VALU_DEP_1)
	v_mul_lo_u32 v3, v2, s5
	v_mul_lo_u32 v2, v2, s4
	s_cbranch_scc1 .LBB5_30
; %bb.29:
	s_clause 0x1
	s_load_b96 s[0:2], s[12:13], 0x10
	s_load_b64 s[4:5], s[12:13], 0xcc
	s_wait_kmcnt 0x0
	v_mul_hi_u32 v4, s1, v1
	s_delay_alu instid0(VALU_DEP_1) | instskip(NEXT) | instid1(VALU_DEP_1)
	v_add_nc_u32_e32 v4, v1, v4
	v_lshrrev_b32_e32 v4, s2, v4
	s_delay_alu instid0(VALU_DEP_1) | instskip(NEXT) | instid1(VALU_DEP_1)
	v_mul_lo_u32 v4, v4, s0
	v_sub_nc_u32_e32 v1, v1, v4
	s_delay_alu instid0(VALU_DEP_1)
	v_mad_u32 v2, v1, s4, v2
	v_mad_u32 v3, v1, s5, v3
.LBB5_30:
	v_cmp_ne_u32_e32 vcc_lo, 1, v6
	v_add_nc_u32_e32 v1, 0x80, v0
	s_cbranch_vccnz .LBB5_36
; %bb.31:
	s_cmp_lg_u32 s30, 0
	s_mov_b32 s6, 0
	s_cbranch_scc0 .LBB5_37
; %bb.32:
	s_min_u32 s1, s31, 15
	s_delay_alu instid0(SALU_CYCLE_1)
	s_add_co_i32 s1, s1, 1
	s_cmp_eq_u32 s31, 2
	s_cbranch_scc1 .LBB5_38
; %bb.33:
	v_dual_mov_b32 v4, 0 :: v_dual_mov_b32 v5, 0
	v_mov_b32_e32 v7, v1
	s_and_b32 s0, s1, 28
	s_add_nc_u64 s[2:3], s[12:13], 0xc4
	s_mov_b32 s7, 0
	s_mov_b64 s[4:5], s[12:13]
.LBB5_34:                               ; =>This Inner Loop Header: Depth=1
	s_clause 0x1
	s_load_b256 s[16:23], s[4:5], 0x4
	s_load_b128 s[8:11], s[4:5], 0x24
	s_load_b256 s[36:43], s[2:3], 0x0
	s_add_co_i32 s7, s7, 4
	s_wait_xcnt 0x0
	s_add_nc_u64 s[4:5], s[4:5], 48
	s_cmp_lg_u32 s0, s7
	s_add_nc_u64 s[2:3], s[2:3], 32
	s_wait_kmcnt 0x0
	v_mul_hi_u32 v9, s17, v7
	s_delay_alu instid0(VALU_DEP_1) | instskip(NEXT) | instid1(VALU_DEP_1)
	v_add_nc_u32_e32 v9, v7, v9
	v_lshrrev_b32_e32 v9, s18, v9
	s_delay_alu instid0(VALU_DEP_1) | instskip(NEXT) | instid1(VALU_DEP_1)
	v_mul_hi_u32 v10, s20, v9
	v_add_nc_u32_e32 v10, v9, v10
	s_delay_alu instid0(VALU_DEP_1) | instskip(NEXT) | instid1(VALU_DEP_1)
	v_lshrrev_b32_e32 v10, s21, v10
	v_mul_hi_u32 v11, s23, v10
	s_delay_alu instid0(VALU_DEP_1) | instskip(SKIP_1) | instid1(VALU_DEP_1)
	v_add_nc_u32_e32 v11, v10, v11
	v_mul_lo_u32 v12, v9, s16
	v_sub_nc_u32_e32 v7, v7, v12
	v_mul_lo_u32 v12, v10, s19
	s_delay_alu instid0(VALU_DEP_4) | instskip(NEXT) | instid1(VALU_DEP_3)
	v_lshrrev_b32_e32 v11, s8, v11
	v_mad_u32 v5, v7, s37, v5
	v_mad_u32 v4, v7, s36, v4
	s_delay_alu instid0(VALU_DEP_4) | instskip(NEXT) | instid1(VALU_DEP_4)
	v_sub_nc_u32_e32 v7, v9, v12
	v_mul_hi_u32 v13, s10, v11
	v_mul_lo_u32 v9, v11, s22
	s_delay_alu instid0(VALU_DEP_3) | instskip(SKIP_1) | instid1(VALU_DEP_4)
	v_mad_u32 v5, v7, s39, v5
	v_mad_u32 v4, v7, s38, v4
	v_add_nc_u32_e32 v12, v11, v13
	s_delay_alu instid0(VALU_DEP_1) | instskip(NEXT) | instid1(VALU_DEP_1)
	v_dual_sub_nc_u32 v9, v10, v9 :: v_dual_lshrrev_b32 v7, s11, v12
	v_mad_u32 v5, v9, s41, v5
	s_delay_alu instid0(VALU_DEP_4) | instskip(NEXT) | instid1(VALU_DEP_3)
	v_mad_u32 v4, v9, s40, v4
	v_mul_lo_u32 v10, v7, s9
	s_delay_alu instid0(VALU_DEP_1) | instskip(NEXT) | instid1(VALU_DEP_1)
	v_sub_nc_u32_e32 v9, v11, v10
	v_mad_u32 v5, v9, s43, v5
	s_delay_alu instid0(VALU_DEP_4)
	v_mad_u32 v4, v9, s42, v4
	s_cbranch_scc1 .LBB5_34
; %bb.35:
	s_and_b32 s4, s1, 3
	s_mov_b32 s1, 0
	s_cmp_eq_u32 s4, 0
	s_cbranch_scc0 .LBB5_39
	s_branch .LBB5_41
.LBB5_36:
	s_mov_b32 s6, -1
                                        ; implicit-def: $vgpr5
	s_branch .LBB5_41
.LBB5_37:
	v_dual_mov_b32 v5, 0 :: v_dual_mov_b32 v4, 0
	s_branch .LBB5_41
.LBB5_38:
	v_mov_b64_e32 v[4:5], 0
	v_mov_b32_e32 v7, v1
	s_mov_b32 s0, 0
	s_and_b32 s4, s1, 3
	s_mov_b32 s1, 0
	s_cmp_eq_u32 s4, 0
	s_cbranch_scc1 .LBB5_41
.LBB5_39:
	s_lshl_b32 s2, s0, 3
	s_mov_b32 s3, s1
	s_mul_u64 s[8:9], s[0:1], 12
	s_add_nc_u64 s[2:3], s[12:13], s[2:3]
	s_delay_alu instid0(SALU_CYCLE_1)
	s_add_nc_u64 s[0:1], s[2:3], 0xc4
	s_add_nc_u64 s[2:3], s[12:13], s[8:9]
.LBB5_40:                               ; =>This Inner Loop Header: Depth=1
	s_load_b96 s[8:10], s[2:3], 0x4
	s_add_co_i32 s4, s4, -1
	s_wait_xcnt 0x0
	s_add_nc_u64 s[2:3], s[2:3], 12
	s_cmp_lg_u32 s4, 0
	s_wait_kmcnt 0x0
	v_mul_hi_u32 v9, s9, v7
	s_delay_alu instid0(VALU_DEP_1) | instskip(NEXT) | instid1(VALU_DEP_1)
	v_add_nc_u32_e32 v9, v7, v9
	v_lshrrev_b32_e32 v9, s10, v9
	s_load_b64 s[10:11], s[0:1], 0x0
	s_wait_xcnt 0x0
	s_add_nc_u64 s[0:1], s[0:1], 8
	s_delay_alu instid0(VALU_DEP_1) | instskip(NEXT) | instid1(VALU_DEP_1)
	v_mul_lo_u32 v10, v9, s8
	v_sub_nc_u32_e32 v7, v7, v10
	s_wait_kmcnt 0x0
	s_delay_alu instid0(VALU_DEP_1)
	v_mad_u32 v5, v7, s11, v5
	v_mad_u32 v4, v7, s10, v4
	v_mov_b32_e32 v7, v9
	s_cbranch_scc1 .LBB5_40
.LBB5_41:
	s_and_not1_b32 vcc_lo, exec_lo, s6
	s_cbranch_vccnz .LBB5_44
; %bb.42:
	s_clause 0x1
	s_load_b96 s[0:2], s[12:13], 0x4
	s_load_b64 s[4:5], s[12:13], 0xc4
	s_cmp_lt_u32 s30, 2
	s_wait_kmcnt 0x0
	v_mul_hi_u32 v4, s1, v1
	s_delay_alu instid0(VALU_DEP_1) | instskip(NEXT) | instid1(VALU_DEP_1)
	v_add_nc_u32_e32 v4, v1, v4
	v_lshrrev_b32_e32 v7, s2, v4
	s_delay_alu instid0(VALU_DEP_1) | instskip(NEXT) | instid1(VALU_DEP_1)
	v_mul_lo_u32 v4, v7, s0
	v_sub_nc_u32_e32 v1, v1, v4
	s_delay_alu instid0(VALU_DEP_1)
	v_mul_lo_u32 v5, v1, s5
	v_mul_lo_u32 v4, v1, s4
	s_cbranch_scc1 .LBB5_44
; %bb.43:
	s_clause 0x1
	s_load_b96 s[0:2], s[12:13], 0x10
	s_load_b64 s[4:5], s[12:13], 0xcc
	s_wait_kmcnt 0x0
	v_mul_hi_u32 v1, s1, v7
	s_delay_alu instid0(VALU_DEP_1) | instskip(NEXT) | instid1(VALU_DEP_1)
	v_add_nc_u32_e32 v1, v7, v1
	v_lshrrev_b32_e32 v1, s2, v1
	s_delay_alu instid0(VALU_DEP_1) | instskip(NEXT) | instid1(VALU_DEP_1)
	v_mul_lo_u32 v1, v1, s0
	v_sub_nc_u32_e32 v1, v7, v1
	s_delay_alu instid0(VALU_DEP_1)
	v_mad_u32 v4, v1, s4, v4
	v_mad_u32 v5, v1, s5, v5
.LBB5_44:
	v_cmp_ne_u32_e32 vcc_lo, 1, v6
	v_add_nc_u32_e32 v7, 0x100, v0
	s_cbranch_vccnz .LBB5_50
; %bb.45:
	s_cmp_lg_u32 s30, 0
	s_mov_b32 s6, 0
	s_cbranch_scc0 .LBB5_51
; %bb.46:
	s_min_u32 s1, s31, 15
	s_delay_alu instid0(SALU_CYCLE_1)
	s_add_co_i32 s1, s1, 1
	s_cmp_eq_u32 s31, 2
	s_cbranch_scc1 .LBB5_52
; %bb.47:
	v_dual_mov_b32 v0, 0 :: v_dual_mov_b32 v1, 0
	v_mov_b32_e32 v9, v7
	s_and_b32 s0, s1, 28
	s_add_nc_u64 s[2:3], s[12:13], 0xc4
	s_mov_b32 s7, 0
	s_mov_b64 s[4:5], s[12:13]
.LBB5_48:                               ; =>This Inner Loop Header: Depth=1
	s_clause 0x1
	s_load_b256 s[16:23], s[4:5], 0x4
	s_load_b128 s[8:11], s[4:5], 0x24
	s_load_b256 s[36:43], s[2:3], 0x0
	s_add_co_i32 s7, s7, 4
	s_wait_xcnt 0x0
	s_add_nc_u64 s[4:5], s[4:5], 48
	s_cmp_lg_u32 s0, s7
	s_add_nc_u64 s[2:3], s[2:3], 32
	s_wait_kmcnt 0x0
	v_mul_hi_u32 v10, s17, v9
	s_delay_alu instid0(VALU_DEP_1) | instskip(NEXT) | instid1(VALU_DEP_1)
	v_add_nc_u32_e32 v10, v9, v10
	v_lshrrev_b32_e32 v10, s18, v10
	s_delay_alu instid0(VALU_DEP_1) | instskip(NEXT) | instid1(VALU_DEP_1)
	v_mul_hi_u32 v11, s20, v10
	v_add_nc_u32_e32 v11, v10, v11
	s_delay_alu instid0(VALU_DEP_1) | instskip(NEXT) | instid1(VALU_DEP_1)
	v_lshrrev_b32_e32 v11, s21, v11
	v_mul_hi_u32 v12, s23, v11
	s_delay_alu instid0(VALU_DEP_1) | instskip(SKIP_1) | instid1(VALU_DEP_1)
	v_add_nc_u32_e32 v12, v11, v12
	v_mul_lo_u32 v13, v10, s16
	v_sub_nc_u32_e32 v9, v9, v13
	v_mul_lo_u32 v13, v11, s19
	s_delay_alu instid0(VALU_DEP_4) | instskip(NEXT) | instid1(VALU_DEP_3)
	v_lshrrev_b32_e32 v12, s8, v12
	v_mad_u32 v1, v9, s37, v1
	v_mad_u32 v0, v9, s36, v0
	s_delay_alu instid0(VALU_DEP_4) | instskip(NEXT) | instid1(VALU_DEP_4)
	v_sub_nc_u32_e32 v9, v10, v13
	v_mul_hi_u32 v14, s10, v12
	v_mul_lo_u32 v10, v12, s22
	s_delay_alu instid0(VALU_DEP_3) | instskip(SKIP_1) | instid1(VALU_DEP_4)
	v_mad_u32 v1, v9, s39, v1
	v_mad_u32 v0, v9, s38, v0
	v_add_nc_u32_e32 v13, v12, v14
	s_delay_alu instid0(VALU_DEP_1) | instskip(NEXT) | instid1(VALU_DEP_1)
	v_dual_sub_nc_u32 v10, v11, v10 :: v_dual_lshrrev_b32 v9, s11, v13
	v_mad_u32 v1, v10, s41, v1
	s_delay_alu instid0(VALU_DEP_4) | instskip(NEXT) | instid1(VALU_DEP_3)
	v_mad_u32 v0, v10, s40, v0
	v_mul_lo_u32 v11, v9, s9
	s_delay_alu instid0(VALU_DEP_1) | instskip(NEXT) | instid1(VALU_DEP_1)
	v_sub_nc_u32_e32 v10, v12, v11
	v_mad_u32 v1, v10, s43, v1
	s_delay_alu instid0(VALU_DEP_4)
	v_mad_u32 v0, v10, s42, v0
	s_cbranch_scc1 .LBB5_48
; %bb.49:
	s_and_b32 s4, s1, 3
	s_mov_b32 s1, 0
	s_cmp_eq_u32 s4, 0
	s_cbranch_scc0 .LBB5_53
	s_branch .LBB5_55
.LBB5_50:
	s_mov_b32 s6, -1
                                        ; implicit-def: $vgpr1
	s_branch .LBB5_55
.LBB5_51:
	v_dual_mov_b32 v1, 0 :: v_dual_mov_b32 v0, 0
	s_branch .LBB5_55
.LBB5_52:
	v_mov_b64_e32 v[0:1], 0
	v_mov_b32_e32 v9, v7
	s_mov_b32 s0, 0
	s_and_b32 s4, s1, 3
	s_mov_b32 s1, 0
	s_cmp_eq_u32 s4, 0
	s_cbranch_scc1 .LBB5_55
.LBB5_53:
	s_lshl_b32 s2, s0, 3
	s_mov_b32 s3, s1
	s_mul_u64 s[8:9], s[0:1], 12
	s_add_nc_u64 s[2:3], s[12:13], s[2:3]
	s_delay_alu instid0(SALU_CYCLE_1)
	s_add_nc_u64 s[0:1], s[2:3], 0xc4
	s_add_nc_u64 s[2:3], s[12:13], s[8:9]
.LBB5_54:                               ; =>This Inner Loop Header: Depth=1
	s_load_b96 s[8:10], s[2:3], 0x4
	s_add_co_i32 s4, s4, -1
	s_wait_xcnt 0x0
	s_add_nc_u64 s[2:3], s[2:3], 12
	s_cmp_lg_u32 s4, 0
	s_wait_kmcnt 0x0
	v_mul_hi_u32 v10, s9, v9
	s_delay_alu instid0(VALU_DEP_1) | instskip(NEXT) | instid1(VALU_DEP_1)
	v_add_nc_u32_e32 v10, v9, v10
	v_lshrrev_b32_e32 v10, s10, v10
	s_load_b64 s[10:11], s[0:1], 0x0
	s_wait_xcnt 0x0
	s_add_nc_u64 s[0:1], s[0:1], 8
	s_delay_alu instid0(VALU_DEP_1) | instskip(NEXT) | instid1(VALU_DEP_1)
	v_mul_lo_u32 v11, v10, s8
	v_sub_nc_u32_e32 v9, v9, v11
	s_wait_kmcnt 0x0
	s_delay_alu instid0(VALU_DEP_1)
	v_mad_u32 v1, v9, s11, v1
	v_mad_u32 v0, v9, s10, v0
	v_mov_b32_e32 v9, v10
	s_cbranch_scc1 .LBB5_54
.LBB5_55:
	s_and_not1_b32 vcc_lo, exec_lo, s6
	s_cbranch_vccnz .LBB5_58
; %bb.56:
	s_clause 0x1
	s_load_b96 s[0:2], s[12:13], 0x4
	s_load_b64 s[4:5], s[12:13], 0xc4
	s_cmp_lt_u32 s30, 2
	s_wait_kmcnt 0x0
	v_mul_hi_u32 v0, s1, v7
	s_delay_alu instid0(VALU_DEP_1) | instskip(NEXT) | instid1(VALU_DEP_1)
	v_add_nc_u32_e32 v0, v7, v0
	v_lshrrev_b32_e32 v9, s2, v0
	s_delay_alu instid0(VALU_DEP_1) | instskip(NEXT) | instid1(VALU_DEP_1)
	v_mul_lo_u32 v0, v9, s0
	v_sub_nc_u32_e32 v0, v7, v0
	s_delay_alu instid0(VALU_DEP_1)
	v_mul_lo_u32 v1, v0, s5
	v_mul_lo_u32 v0, v0, s4
	s_cbranch_scc1 .LBB5_58
; %bb.57:
	s_clause 0x1
	s_load_b96 s[0:2], s[12:13], 0x10
	s_load_b64 s[4:5], s[12:13], 0xcc
	s_wait_kmcnt 0x0
	v_mul_hi_u32 v7, s1, v9
	s_delay_alu instid0(VALU_DEP_1) | instskip(NEXT) | instid1(VALU_DEP_1)
	v_add_nc_u32_e32 v7, v9, v7
	v_lshrrev_b32_e32 v7, s2, v7
	s_delay_alu instid0(VALU_DEP_1) | instskip(NEXT) | instid1(VALU_DEP_1)
	v_mul_lo_u32 v7, v7, s0
	v_sub_nc_u32_e32 v7, v9, v7
	s_delay_alu instid0(VALU_DEP_1)
	v_mad_u32 v0, v7, s4, v0
	v_mad_u32 v1, v7, s5, v1
.LBB5_58:
	v_cmp_ne_u32_e32 vcc_lo, 1, v6
	s_cbranch_vccnz .LBB5_64
; %bb.59:
	s_cmp_lg_u32 s30, 0
	s_mov_b32 s6, 0
	s_cbranch_scc0 .LBB5_65
; %bb.60:
	s_min_u32 s1, s31, 15
	s_delay_alu instid0(SALU_CYCLE_1)
	s_add_co_i32 s1, s1, 1
	s_cmp_eq_u32 s31, 2
	s_cbranch_scc1 .LBB5_66
; %bb.61:
	v_dual_mov_b32 v6, 0 :: v_dual_mov_b32 v7, 0
	v_mov_b32_e32 v9, v8
	s_and_b32 s0, s1, 28
	s_add_nc_u64 s[2:3], s[12:13], 0xc4
	s_mov_b32 s7, 0
	s_mov_b64 s[4:5], s[12:13]
.LBB5_62:                               ; =>This Inner Loop Header: Depth=1
	s_clause 0x1
	s_load_b256 s[16:23], s[4:5], 0x4
	s_load_b128 s[8:11], s[4:5], 0x24
	s_load_b256 s[36:43], s[2:3], 0x0
	s_add_co_i32 s7, s7, 4
	s_wait_xcnt 0x0
	s_add_nc_u64 s[4:5], s[4:5], 48
	s_cmp_lg_u32 s0, s7
	s_add_nc_u64 s[2:3], s[2:3], 32
	s_wait_kmcnt 0x0
	v_mul_hi_u32 v10, s17, v9
	s_delay_alu instid0(VALU_DEP_1) | instskip(NEXT) | instid1(VALU_DEP_1)
	v_add_nc_u32_e32 v10, v9, v10
	v_lshrrev_b32_e32 v10, s18, v10
	s_delay_alu instid0(VALU_DEP_1) | instskip(NEXT) | instid1(VALU_DEP_1)
	v_mul_hi_u32 v11, s20, v10
	v_add_nc_u32_e32 v11, v10, v11
	s_delay_alu instid0(VALU_DEP_1) | instskip(NEXT) | instid1(VALU_DEP_1)
	v_lshrrev_b32_e32 v11, s21, v11
	v_mul_hi_u32 v12, s23, v11
	s_delay_alu instid0(VALU_DEP_1) | instskip(SKIP_1) | instid1(VALU_DEP_1)
	v_add_nc_u32_e32 v12, v11, v12
	v_mul_lo_u32 v13, v10, s16
	v_sub_nc_u32_e32 v9, v9, v13
	v_mul_lo_u32 v13, v11, s19
	s_delay_alu instid0(VALU_DEP_4) | instskip(NEXT) | instid1(VALU_DEP_3)
	v_lshrrev_b32_e32 v12, s8, v12
	v_mad_u32 v7, v9, s37, v7
	v_mad_u32 v6, v9, s36, v6
	s_delay_alu instid0(VALU_DEP_4) | instskip(NEXT) | instid1(VALU_DEP_4)
	v_sub_nc_u32_e32 v9, v10, v13
	v_mul_hi_u32 v14, s10, v12
	v_mul_lo_u32 v10, v12, s22
	s_delay_alu instid0(VALU_DEP_3) | instskip(SKIP_1) | instid1(VALU_DEP_4)
	v_mad_u32 v7, v9, s39, v7
	v_mad_u32 v6, v9, s38, v6
	v_add_nc_u32_e32 v13, v12, v14
	s_delay_alu instid0(VALU_DEP_1) | instskip(NEXT) | instid1(VALU_DEP_1)
	v_dual_sub_nc_u32 v10, v11, v10 :: v_dual_lshrrev_b32 v9, s11, v13
	v_mad_u32 v7, v10, s41, v7
	s_delay_alu instid0(VALU_DEP_4) | instskip(NEXT) | instid1(VALU_DEP_3)
	v_mad_u32 v6, v10, s40, v6
	v_mul_lo_u32 v11, v9, s9
	s_delay_alu instid0(VALU_DEP_1) | instskip(NEXT) | instid1(VALU_DEP_1)
	v_sub_nc_u32_e32 v10, v12, v11
	v_mad_u32 v7, v10, s43, v7
	s_delay_alu instid0(VALU_DEP_4)
	v_mad_u32 v6, v10, s42, v6
	s_cbranch_scc1 .LBB5_62
; %bb.63:
	s_and_b32 s4, s1, 3
	s_mov_b32 s1, 0
	s_cmp_eq_u32 s4, 0
	s_cbranch_scc0 .LBB5_67
	s_branch .LBB5_69
.LBB5_64:
	s_mov_b32 s6, -1
                                        ; implicit-def: $vgpr7
	s_branch .LBB5_69
.LBB5_65:
	v_dual_mov_b32 v7, 0 :: v_dual_mov_b32 v6, 0
	s_branch .LBB5_69
.LBB5_66:
	v_mov_b64_e32 v[6:7], 0
	v_mov_b32_e32 v9, v8
	s_mov_b32 s0, 0
	s_and_b32 s4, s1, 3
	s_mov_b32 s1, 0
	s_cmp_eq_u32 s4, 0
	s_cbranch_scc1 .LBB5_69
.LBB5_67:
	s_lshl_b32 s2, s0, 3
	s_mov_b32 s3, s1
	s_mul_u64 s[8:9], s[0:1], 12
	s_add_nc_u64 s[2:3], s[12:13], s[2:3]
	s_delay_alu instid0(SALU_CYCLE_1)
	s_add_nc_u64 s[0:1], s[2:3], 0xc4
	s_add_nc_u64 s[2:3], s[12:13], s[8:9]
.LBB5_68:                               ; =>This Inner Loop Header: Depth=1
	s_load_b96 s[8:10], s[2:3], 0x4
	s_add_co_i32 s4, s4, -1
	s_wait_xcnt 0x0
	s_add_nc_u64 s[2:3], s[2:3], 12
	s_cmp_lg_u32 s4, 0
	s_wait_kmcnt 0x0
	v_mul_hi_u32 v10, s9, v9
	s_delay_alu instid0(VALU_DEP_1) | instskip(NEXT) | instid1(VALU_DEP_1)
	v_add_nc_u32_e32 v10, v9, v10
	v_lshrrev_b32_e32 v10, s10, v10
	s_load_b64 s[10:11], s[0:1], 0x0
	s_wait_xcnt 0x0
	s_add_nc_u64 s[0:1], s[0:1], 8
	s_delay_alu instid0(VALU_DEP_1) | instskip(NEXT) | instid1(VALU_DEP_1)
	v_mul_lo_u32 v11, v10, s8
	v_sub_nc_u32_e32 v9, v9, v11
	s_wait_kmcnt 0x0
	s_delay_alu instid0(VALU_DEP_1)
	v_mad_u32 v7, v9, s11, v7
	v_mad_u32 v6, v9, s10, v6
	v_mov_b32_e32 v9, v10
	s_cbranch_scc1 .LBB5_68
.LBB5_69:
	s_and_not1_b32 vcc_lo, exec_lo, s6
	s_cbranch_vccnz .LBB5_72
; %bb.70:
	s_clause 0x1
	s_load_b96 s[0:2], s[12:13], 0x4
	s_load_b64 s[4:5], s[12:13], 0xc4
	s_cmp_lt_u32 s30, 2
	s_wait_kmcnt 0x0
	v_mul_hi_u32 v6, s1, v8
	s_delay_alu instid0(VALU_DEP_1) | instskip(NEXT) | instid1(VALU_DEP_1)
	v_add_nc_u32_e32 v6, v8, v6
	v_lshrrev_b32_e32 v9, s2, v6
	s_delay_alu instid0(VALU_DEP_1) | instskip(NEXT) | instid1(VALU_DEP_1)
	v_mul_lo_u32 v6, v9, s0
	v_sub_nc_u32_e32 v6, v8, v6
	s_delay_alu instid0(VALU_DEP_1)
	v_mul_lo_u32 v7, v6, s5
	v_mul_lo_u32 v6, v6, s4
	s_cbranch_scc1 .LBB5_72
; %bb.71:
	s_clause 0x1
	s_load_b96 s[0:2], s[12:13], 0x10
	s_load_b64 s[4:5], s[12:13], 0xcc
	s_wait_kmcnt 0x0
	v_mul_hi_u32 v8, s1, v9
	s_delay_alu instid0(VALU_DEP_1) | instskip(NEXT) | instid1(VALU_DEP_1)
	v_add_nc_u32_e32 v8, v9, v8
	v_lshrrev_b32_e32 v8, s2, v8
	s_delay_alu instid0(VALU_DEP_1) | instskip(NEXT) | instid1(VALU_DEP_1)
	v_mul_lo_u32 v8, v8, s0
	v_sub_nc_u32_e32 v8, v9, v8
	s_delay_alu instid0(VALU_DEP_1)
	v_mad_u32 v6, v8, s4, v6
	v_mad_u32 v7, v8, s5, v7
.LBB5_72:
	s_clause 0x1
	s_load_b128 s[0:3], s[12:13], 0x148
	s_load_b64 s[4:5], s[12:13], 0x158
	v_mov_b64_e32 v[8:9], 1.0
	v_mov_b64_e32 v[10:11], 1.0
	s_mov_b32 s6, exec_lo
	s_wait_kmcnt 0x0
	global_load_b64 v[12:13], v3, s[2:3]
	s_wait_loadcnt 0x0
	v_cmpx_lt_f64_e32 s[4:5], v[12:13]
	s_cbranch_execz .LBB5_74
; %bb.73:
	v_add_f64_e32 v[10:11], 0x3e7ad7f29abcaf48, v[12:13]
	s_delay_alu instid0(VALU_DEP_1) | instskip(NEXT) | instid1(VALU_DEP_1)
	v_div_scale_f64 v[12:13], null, v[10:11], v[10:11], s[4:5]
	v_rcp_f64_e32 v[14:15], v[12:13]
	v_nop
	s_delay_alu instid0(TRANS32_DEP_1) | instskip(NEXT) | instid1(VALU_DEP_1)
	v_fma_f64 v[16:17], -v[12:13], v[14:15], 1.0
	v_fmac_f64_e32 v[14:15], v[14:15], v[16:17]
	s_delay_alu instid0(VALU_DEP_1) | instskip(NEXT) | instid1(VALU_DEP_1)
	v_fma_f64 v[16:17], -v[12:13], v[14:15], 1.0
	v_fmac_f64_e32 v[14:15], v[14:15], v[16:17]
	v_div_scale_f64 v[16:17], vcc_lo, s[4:5], v[10:11], s[4:5]
	s_delay_alu instid0(VALU_DEP_1) | instskip(NEXT) | instid1(VALU_DEP_1)
	v_mul_f64_e32 v[18:19], v[16:17], v[14:15]
	v_fma_f64 v[12:13], -v[12:13], v[18:19], v[16:17]
	s_delay_alu instid0(VALU_DEP_1) | instskip(NEXT) | instid1(VALU_DEP_1)
	v_div_fmas_f64 v[12:13], v[12:13], v[14:15], v[18:19]
	v_div_fixup_f64 v[10:11], v[12:13], v[10:11], s[4:5]
.LBB5_74:
	s_or_b32 exec_lo, exec_lo, s6
	global_load_b64 v[12:13], v5, s[2:3]
	s_mov_b32 s6, exec_lo
	s_wait_loadcnt 0x0
	v_cmpx_lt_f64_e32 s[4:5], v[12:13]
	s_cbranch_execz .LBB5_76
; %bb.75:
	v_add_f64_e32 v[8:9], 0x3e7ad7f29abcaf48, v[12:13]
	s_delay_alu instid0(VALU_DEP_1) | instskip(NEXT) | instid1(VALU_DEP_1)
	v_div_scale_f64 v[12:13], null, v[8:9], v[8:9], s[4:5]
	v_rcp_f64_e32 v[14:15], v[12:13]
	v_nop
	s_delay_alu instid0(TRANS32_DEP_1) | instskip(NEXT) | instid1(VALU_DEP_1)
	v_fma_f64 v[16:17], -v[12:13], v[14:15], 1.0
	v_fmac_f64_e32 v[14:15], v[14:15], v[16:17]
	s_delay_alu instid0(VALU_DEP_1) | instskip(NEXT) | instid1(VALU_DEP_1)
	v_fma_f64 v[16:17], -v[12:13], v[14:15], 1.0
	v_fmac_f64_e32 v[14:15], v[14:15], v[16:17]
	v_div_scale_f64 v[16:17], vcc_lo, s[4:5], v[8:9], s[4:5]
	s_delay_alu instid0(VALU_DEP_1) | instskip(NEXT) | instid1(VALU_DEP_1)
	v_mul_f64_e32 v[18:19], v[16:17], v[14:15]
	v_fma_f64 v[12:13], -v[12:13], v[18:19], v[16:17]
	s_delay_alu instid0(VALU_DEP_1) | instskip(NEXT) | instid1(VALU_DEP_1)
	v_div_fmas_f64 v[12:13], v[12:13], v[14:15], v[18:19]
	v_div_fixup_f64 v[8:9], v[12:13], v[8:9], s[4:5]
.LBB5_76:
	s_or_b32 exec_lo, exec_lo, s6
	global_load_b64 v[16:17], v1, s[2:3]
	v_mov_b64_e32 v[12:13], 1.0
	v_mov_b64_e32 v[14:15], 1.0
	s_mov_b32 s6, exec_lo
	s_wait_loadcnt 0x0
	v_cmpx_lt_f64_e32 s[4:5], v[16:17]
	s_cbranch_execz .LBB5_78
; %bb.77:
	v_add_f64_e32 v[14:15], 0x3e7ad7f29abcaf48, v[16:17]
	s_delay_alu instid0(VALU_DEP_1) | instskip(NEXT) | instid1(VALU_DEP_1)
	v_div_scale_f64 v[16:17], null, v[14:15], v[14:15], s[4:5]
	v_rcp_f64_e32 v[18:19], v[16:17]
	v_nop
	s_delay_alu instid0(TRANS32_DEP_1) | instskip(NEXT) | instid1(VALU_DEP_1)
	v_fma_f64 v[20:21], -v[16:17], v[18:19], 1.0
	v_fmac_f64_e32 v[18:19], v[18:19], v[20:21]
	s_delay_alu instid0(VALU_DEP_1) | instskip(NEXT) | instid1(VALU_DEP_1)
	v_fma_f64 v[20:21], -v[16:17], v[18:19], 1.0
	v_fmac_f64_e32 v[18:19], v[18:19], v[20:21]
	v_div_scale_f64 v[20:21], vcc_lo, s[4:5], v[14:15], s[4:5]
	s_delay_alu instid0(VALU_DEP_1) | instskip(NEXT) | instid1(VALU_DEP_1)
	v_mul_f64_e32 v[22:23], v[20:21], v[18:19]
	v_fma_f64 v[16:17], -v[16:17], v[22:23], v[20:21]
	s_delay_alu instid0(VALU_DEP_1) | instskip(NEXT) | instid1(VALU_DEP_1)
	v_div_fmas_f64 v[16:17], v[16:17], v[18:19], v[22:23]
	v_div_fixup_f64 v[14:15], v[16:17], v[14:15], s[4:5]
.LBB5_78:
	s_or_b32 exec_lo, exec_lo, s6
	global_load_b64 v[16:17], v7, s[2:3]
	s_wait_xcnt 0x0
	s_mov_b32 s2, exec_lo
	s_wait_loadcnt 0x0
	v_cmpx_lt_f64_e32 s[4:5], v[16:17]
	s_cbranch_execz .LBB5_80
; %bb.79:
	v_add_f64_e32 v[12:13], 0x3e7ad7f29abcaf48, v[16:17]
	s_delay_alu instid0(VALU_DEP_1) | instskip(NEXT) | instid1(VALU_DEP_1)
	v_div_scale_f64 v[16:17], null, v[12:13], v[12:13], s[4:5]
	v_rcp_f64_e32 v[18:19], v[16:17]
	v_nop
	s_delay_alu instid0(TRANS32_DEP_1) | instskip(NEXT) | instid1(VALU_DEP_1)
	v_fma_f64 v[20:21], -v[16:17], v[18:19], 1.0
	v_fmac_f64_e32 v[18:19], v[18:19], v[20:21]
	s_delay_alu instid0(VALU_DEP_1) | instskip(NEXT) | instid1(VALU_DEP_1)
	v_fma_f64 v[20:21], -v[16:17], v[18:19], 1.0
	v_fmac_f64_e32 v[18:19], v[18:19], v[20:21]
	v_div_scale_f64 v[20:21], vcc_lo, s[4:5], v[12:13], s[4:5]
	s_delay_alu instid0(VALU_DEP_1) | instskip(NEXT) | instid1(VALU_DEP_1)
	v_mul_f64_e32 v[22:23], v[20:21], v[18:19]
	v_fma_f64 v[16:17], -v[16:17], v[22:23], v[20:21]
	s_delay_alu instid0(VALU_DEP_1) | instskip(NEXT) | instid1(VALU_DEP_1)
	v_div_fmas_f64 v[16:17], v[16:17], v[18:19], v[22:23]
	v_div_fixup_f64 v[12:13], v[16:17], v[12:13], s[4:5]
.LBB5_80:
	s_or_b32 exec_lo, exec_lo, s2
	s_clause 0x3
	global_store_b64 v2, v[10:11], s[0:1]
	global_store_b64 v4, v[8:9], s[0:1]
	;; [unrolled: 1-line block ×4, first 2 shown]
	s_endpgm
.LBB5_81:
	v_dual_mov_b32 v3, 0 :: v_dual_mov_b32 v2, 0
	s_branch .LBB5_87
.LBB5_82:
	v_dual_mov_b32 v3, 0 :: v_dual_mov_b32 v2, 0
	s_branch .LBB5_105
.LBB5_83:
	v_mov_b64_e32 v[2:3], 0
	v_mov_b32_e32 v1, v0
	s_mov_b32 s24, 0
.LBB5_84:
	s_and_b32 s16, s16, 3
	s_mov_b32 s25, 0
	s_cmp_eq_u32 s16, 0
	s_cbranch_scc1 .LBB5_87
; %bb.85:
	s_lshl_b32 s26, s24, 3
	s_mov_b32 s27, s25
	s_mul_u64 s[28:29], s[24:25], 12
	s_add_nc_u64 s[26:27], s[12:13], s[26:27]
	s_delay_alu instid0(SALU_CYCLE_1)
	s_add_nc_u64 s[24:25], s[26:27], 0xc4
	s_add_nc_u64 s[26:27], s[12:13], s[28:29]
.LBB5_86:                               ; =>This Inner Loop Header: Depth=1
	s_load_b96 s[40:42], s[26:27], 0x4
	s_load_b64 s[28:29], s[24:25], 0x0
	s_add_co_i32 s16, s16, -1
	s_wait_xcnt 0x0
	s_add_nc_u64 s[26:27], s[26:27], 12
	s_cmp_lg_u32 s16, 0
	s_add_nc_u64 s[24:25], s[24:25], 8
	s_wait_kmcnt 0x0
	v_mul_hi_u32 v4, s41, v1
	s_delay_alu instid0(VALU_DEP_1) | instskip(NEXT) | instid1(VALU_DEP_1)
	v_add_nc_u32_e32 v4, v1, v4
	v_lshrrev_b32_e32 v4, s42, v4
	s_delay_alu instid0(VALU_DEP_1) | instskip(NEXT) | instid1(VALU_DEP_1)
	v_mul_lo_u32 v5, v4, s40
	v_sub_nc_u32_e32 v1, v1, v5
	s_delay_alu instid0(VALU_DEP_1)
	v_mad_u32 v3, v1, s29, v3
	v_mad_u32 v2, v1, s28, v2
	v_mov_b32_e32 v1, v4
	s_cbranch_scc1 .LBB5_86
.LBB5_87:
	s_cbranch_execnz .LBB5_90
.LBB5_88:
	v_mov_b32_e32 v1, 0
	s_and_not1_b32 vcc_lo, exec_lo, s35
	s_delay_alu instid0(VALU_DEP_1) | instskip(NEXT) | instid1(VALU_DEP_1)
	v_mul_u64_e32 v[2:3], s[18:19], v[0:1]
	v_add_nc_u32_e32 v2, v0, v3
	s_delay_alu instid0(VALU_DEP_1) | instskip(NEXT) | instid1(VALU_DEP_1)
	v_lshrrev_b32_e32 v4, s6, v2
	v_mul_lo_u32 v2, v4, s4
	s_delay_alu instid0(VALU_DEP_1) | instskip(NEXT) | instid1(VALU_DEP_1)
	v_sub_nc_u32_e32 v2, v0, v2
	v_mul_lo_u32 v3, v2, s9
	v_mul_lo_u32 v2, v2, s8
	s_cbranch_vccnz .LBB5_90
; %bb.89:
	v_mov_b32_e32 v5, v1
	s_delay_alu instid0(VALU_DEP_1) | instskip(NEXT) | instid1(VALU_DEP_1)
	v_mul_u64_e32 v[6:7], s[20:21], v[4:5]
	v_add_nc_u32_e32 v1, v4, v7
	s_delay_alu instid0(VALU_DEP_1) | instskip(NEXT) | instid1(VALU_DEP_1)
	v_lshrrev_b32_e32 v1, s17, v1
	v_mul_lo_u32 v1, v1, s7
	s_delay_alu instid0(VALU_DEP_1) | instskip(NEXT) | instid1(VALU_DEP_1)
	v_sub_nc_u32_e32 v1, v4, v1
	v_mad_u32 v2, v1, s10, v2
	v_mad_u32 v3, v1, s11, v3
.LBB5_90:
	global_load_b64 v[6:7], v3, s[2:3]
	v_mov_b64_e32 v[4:5], 1.0
	s_mov_b32 s16, exec_lo
	s_wait_loadcnt 0x0
	v_cmpx_lt_f64_e32 s[14:15], v[6:7]
	s_cbranch_execz .LBB5_92
; %bb.91:
	v_add_f64_e32 v[4:5], 0x3e7ad7f29abcaf48, v[6:7]
	s_delay_alu instid0(VALU_DEP_1) | instskip(NEXT) | instid1(VALU_DEP_1)
	v_div_scale_f64 v[6:7], null, v[4:5], v[4:5], s[14:15]
	v_rcp_f64_e32 v[8:9], v[6:7]
	v_nop
	s_delay_alu instid0(TRANS32_DEP_1) | instskip(NEXT) | instid1(VALU_DEP_1)
	v_fma_f64 v[10:11], -v[6:7], v[8:9], 1.0
	v_fmac_f64_e32 v[8:9], v[8:9], v[10:11]
	s_delay_alu instid0(VALU_DEP_1) | instskip(NEXT) | instid1(VALU_DEP_1)
	v_fma_f64 v[10:11], -v[6:7], v[8:9], 1.0
	v_fmac_f64_e32 v[8:9], v[8:9], v[10:11]
	v_div_scale_f64 v[10:11], vcc_lo, s[14:15], v[4:5], s[14:15]
	s_delay_alu instid0(VALU_DEP_1) | instskip(NEXT) | instid1(VALU_DEP_1)
	v_mul_f64_e32 v[12:13], v[10:11], v[8:9]
	v_fma_f64 v[6:7], -v[6:7], v[12:13], v[10:11]
	s_delay_alu instid0(VALU_DEP_1) | instskip(NEXT) | instid1(VALU_DEP_1)
	v_div_fmas_f64 v[6:7], v[6:7], v[8:9], v[12:13]
	v_div_fixup_f64 v[4:5], v[6:7], v[4:5], s[14:15]
.LBB5_92:
	s_or_b32 exec_lo, exec_lo, s16
	v_add_nc_u32_e32 v0, 0x80, v0
	global_store_b64 v2, v[4:5], s[0:1]
	s_wait_xcnt 0x0
	s_or_b32 exec_lo, exec_lo, s5
	s_delay_alu instid0(SALU_CYCLE_1)
	s_mov_b32 s5, exec_lo
	v_cmpx_gt_i32_e64 s36, v0
	s_cbranch_execnz .LBB5_15
.LBB5_93:
	s_or_b32 exec_lo, exec_lo, s5
	s_delay_alu instid0(SALU_CYCLE_1)
	s_mov_b32 s5, exec_lo
	v_cmpx_gt_i32_e64 s36, v0
	s_cbranch_execz .LBB5_111
.LBB5_94:
	s_and_not1_b32 vcc_lo, exec_lo, s33
	s_cbranch_vccnz .LBB5_99
; %bb.95:
	s_and_not1_b32 vcc_lo, exec_lo, s38
	s_cbranch_vccnz .LBB5_100
; %bb.96:
	s_add_co_i32 s16, s37, 1
	s_cmp_eq_u32 s31, 2
	s_cbranch_scc1 .LBB5_114
; %bb.97:
	v_dual_mov_b32 v2, 0 :: v_dual_mov_b32 v3, 0
	v_mov_b32_e32 v1, v0
	s_and_b32 s24, s16, 28
	s_mov_b32 s25, 0
	s_mov_b64 s[26:27], s[12:13]
	s_mov_b64 s[28:29], s[22:23]
.LBB5_98:                               ; =>This Inner Loop Header: Depth=1
	s_clause 0x1
	s_load_b256 s[40:47], s[26:27], 0x4
	s_load_b128 s[56:59], s[26:27], 0x24
	s_load_b256 s[48:55], s[28:29], 0x0
	s_add_co_i32 s25, s25, 4
	s_wait_xcnt 0x0
	s_add_nc_u64 s[26:27], s[26:27], 48
	s_cmp_eq_u32 s24, s25
	s_add_nc_u64 s[28:29], s[28:29], 32
	s_wait_kmcnt 0x0
	v_mul_hi_u32 v4, s41, v1
	s_delay_alu instid0(VALU_DEP_1) | instskip(NEXT) | instid1(VALU_DEP_1)
	v_add_nc_u32_e32 v4, v1, v4
	v_lshrrev_b32_e32 v4, s42, v4
	s_delay_alu instid0(VALU_DEP_1) | instskip(NEXT) | instid1(VALU_DEP_1)
	v_mul_hi_u32 v5, s44, v4
	v_add_nc_u32_e32 v5, v4, v5
	s_delay_alu instid0(VALU_DEP_1) | instskip(NEXT) | instid1(VALU_DEP_1)
	v_lshrrev_b32_e32 v5, s45, v5
	v_mul_hi_u32 v6, s47, v5
	s_delay_alu instid0(VALU_DEP_1) | instskip(SKIP_1) | instid1(VALU_DEP_1)
	v_add_nc_u32_e32 v6, v5, v6
	v_mul_lo_u32 v7, v4, s40
	v_sub_nc_u32_e32 v1, v1, v7
	v_mul_lo_u32 v7, v5, s43
	s_delay_alu instid0(VALU_DEP_4) | instskip(NEXT) | instid1(VALU_DEP_3)
	v_lshrrev_b32_e32 v6, s56, v6
	v_mad_u32 v3, v1, s49, v3
	v_mad_u32 v1, v1, s48, v2
	s_delay_alu instid0(VALU_DEP_4) | instskip(NEXT) | instid1(VALU_DEP_4)
	v_sub_nc_u32_e32 v2, v4, v7
	v_mul_hi_u32 v8, s58, v6
	v_mul_lo_u32 v4, v6, s46
	s_delay_alu instid0(VALU_DEP_3) | instskip(SKIP_1) | instid1(VALU_DEP_4)
	v_mad_u32 v3, v2, s51, v3
	v_mad_u32 v2, v2, s50, v1
	v_add_nc_u32_e32 v7, v6, v8
	s_delay_alu instid0(VALU_DEP_1) | instskip(NEXT) | instid1(VALU_DEP_1)
	v_dual_sub_nc_u32 v4, v5, v4 :: v_dual_lshrrev_b32 v1, s59, v7
	v_mad_u32 v3, v4, s53, v3
	s_delay_alu instid0(VALU_DEP_4) | instskip(NEXT) | instid1(VALU_DEP_3)
	v_mad_u32 v2, v4, s52, v2
	v_mul_lo_u32 v5, v1, s57
	s_delay_alu instid0(VALU_DEP_1) | instskip(NEXT) | instid1(VALU_DEP_1)
	v_sub_nc_u32_e32 v4, v6, v5
	v_mad_u32 v3, v4, s55, v3
	s_delay_alu instid0(VALU_DEP_4)
	v_mad_u32 v2, v4, s54, v2
	s_cbranch_scc0 .LBB5_98
	s_branch .LBB5_115
.LBB5_99:
                                        ; implicit-def: $vgpr3
	s_branch .LBB5_119
.LBB5_100:
	v_dual_mov_b32 v3, 0 :: v_dual_mov_b32 v2, 0
	s_branch .LBB5_118
.LBB5_101:
	v_mov_b64_e32 v[2:3], 0
	v_mov_b32_e32 v1, v0
	s_mov_b32 s24, 0
.LBB5_102:
	s_and_b32 s16, s16, 3
	s_mov_b32 s25, 0
	s_cmp_eq_u32 s16, 0
	s_cbranch_scc1 .LBB5_105
; %bb.103:
	s_lshl_b32 s26, s24, 3
	s_mov_b32 s27, s25
	s_mul_u64 s[28:29], s[24:25], 12
	s_add_nc_u64 s[26:27], s[12:13], s[26:27]
	s_delay_alu instid0(SALU_CYCLE_1)
	s_add_nc_u64 s[24:25], s[26:27], 0xc4
	s_add_nc_u64 s[26:27], s[12:13], s[28:29]
.LBB5_104:                              ; =>This Inner Loop Header: Depth=1
	s_load_b96 s[40:42], s[26:27], 0x4
	s_load_b64 s[28:29], s[24:25], 0x0
	s_add_co_i32 s16, s16, -1
	s_wait_xcnt 0x0
	s_add_nc_u64 s[26:27], s[26:27], 12
	s_cmp_lg_u32 s16, 0
	s_add_nc_u64 s[24:25], s[24:25], 8
	s_wait_kmcnt 0x0
	v_mul_hi_u32 v4, s41, v1
	s_delay_alu instid0(VALU_DEP_1) | instskip(NEXT) | instid1(VALU_DEP_1)
	v_add_nc_u32_e32 v4, v1, v4
	v_lshrrev_b32_e32 v4, s42, v4
	s_delay_alu instid0(VALU_DEP_1) | instskip(NEXT) | instid1(VALU_DEP_1)
	v_mul_lo_u32 v5, v4, s40
	v_sub_nc_u32_e32 v1, v1, v5
	s_delay_alu instid0(VALU_DEP_1)
	v_mad_u32 v3, v1, s29, v3
	v_mad_u32 v2, v1, s28, v2
	v_mov_b32_e32 v1, v4
	s_cbranch_scc1 .LBB5_104
.LBB5_105:
	s_cbranch_execnz .LBB5_108
.LBB5_106:
	v_mov_b32_e32 v1, 0
	s_and_not1_b32 vcc_lo, exec_lo, s35
	s_delay_alu instid0(VALU_DEP_1) | instskip(NEXT) | instid1(VALU_DEP_1)
	v_mul_u64_e32 v[2:3], s[18:19], v[0:1]
	v_add_nc_u32_e32 v2, v0, v3
	s_delay_alu instid0(VALU_DEP_1) | instskip(NEXT) | instid1(VALU_DEP_1)
	v_lshrrev_b32_e32 v4, s6, v2
	v_mul_lo_u32 v2, v4, s4
	s_delay_alu instid0(VALU_DEP_1) | instskip(NEXT) | instid1(VALU_DEP_1)
	v_sub_nc_u32_e32 v2, v0, v2
	v_mul_lo_u32 v3, v2, s9
	v_mul_lo_u32 v2, v2, s8
	s_cbranch_vccnz .LBB5_108
; %bb.107:
	v_mov_b32_e32 v5, v1
	s_delay_alu instid0(VALU_DEP_1) | instskip(NEXT) | instid1(VALU_DEP_1)
	v_mul_u64_e32 v[6:7], s[20:21], v[4:5]
	v_add_nc_u32_e32 v1, v4, v7
	s_delay_alu instid0(VALU_DEP_1) | instskip(NEXT) | instid1(VALU_DEP_1)
	v_lshrrev_b32_e32 v1, s17, v1
	v_mul_lo_u32 v1, v1, s7
	s_delay_alu instid0(VALU_DEP_1) | instskip(NEXT) | instid1(VALU_DEP_1)
	v_sub_nc_u32_e32 v1, v4, v1
	v_mad_u32 v2, v1, s10, v2
	v_mad_u32 v3, v1, s11, v3
.LBB5_108:
	global_load_b64 v[6:7], v3, s[2:3]
	v_mov_b64_e32 v[4:5], 1.0
	s_mov_b32 s16, exec_lo
	s_wait_loadcnt 0x0
	v_cmpx_lt_f64_e32 s[14:15], v[6:7]
	s_cbranch_execz .LBB5_110
; %bb.109:
	v_add_f64_e32 v[4:5], 0x3e7ad7f29abcaf48, v[6:7]
	s_delay_alu instid0(VALU_DEP_1) | instskip(NEXT) | instid1(VALU_DEP_1)
	v_div_scale_f64 v[6:7], null, v[4:5], v[4:5], s[14:15]
	v_rcp_f64_e32 v[8:9], v[6:7]
	v_nop
	s_delay_alu instid0(TRANS32_DEP_1) | instskip(NEXT) | instid1(VALU_DEP_1)
	v_fma_f64 v[10:11], -v[6:7], v[8:9], 1.0
	v_fmac_f64_e32 v[8:9], v[8:9], v[10:11]
	s_delay_alu instid0(VALU_DEP_1) | instskip(NEXT) | instid1(VALU_DEP_1)
	v_fma_f64 v[10:11], -v[6:7], v[8:9], 1.0
	v_fmac_f64_e32 v[8:9], v[8:9], v[10:11]
	v_div_scale_f64 v[10:11], vcc_lo, s[14:15], v[4:5], s[14:15]
	s_delay_alu instid0(VALU_DEP_1) | instskip(NEXT) | instid1(VALU_DEP_1)
	v_mul_f64_e32 v[12:13], v[10:11], v[8:9]
	v_fma_f64 v[6:7], -v[6:7], v[12:13], v[10:11]
	s_delay_alu instid0(VALU_DEP_1) | instskip(NEXT) | instid1(VALU_DEP_1)
	v_div_fmas_f64 v[6:7], v[6:7], v[8:9], v[12:13]
	v_div_fixup_f64 v[4:5], v[6:7], v[4:5], s[14:15]
.LBB5_110:
	s_or_b32 exec_lo, exec_lo, s16
	v_add_nc_u32_e32 v0, 0x80, v0
	global_store_b64 v2, v[4:5], s[0:1]
	s_wait_xcnt 0x0
	s_or_b32 exec_lo, exec_lo, s5
	s_delay_alu instid0(SALU_CYCLE_1)
	s_mov_b32 s5, exec_lo
	v_cmpx_gt_i32_e64 s36, v0
	s_cbranch_execnz .LBB5_94
.LBB5_111:
	s_or_b32 exec_lo, exec_lo, s5
	s_delay_alu instid0(SALU_CYCLE_1)
	s_mov_b32 s5, exec_lo
	v_cmpx_gt_i32_e64 s36, v0
	s_cbranch_execnz .LBB5_124
.LBB5_112:
	s_or_b32 exec_lo, exec_lo, s5
                                        ; implicit-def: $vgpr8
                                        ; implicit-def: $vgpr0
	s_and_not1_saveexec_b32 s0, s34
	s_cbranch_execnz .LBB5_8
.LBB5_113:
	s_endpgm
.LBB5_114:
	v_mov_b64_e32 v[2:3], 0
	v_mov_b32_e32 v1, v0
	s_mov_b32 s24, 0
.LBB5_115:
	s_and_b32 s16, s16, 3
	s_mov_b32 s25, 0
	s_cmp_eq_u32 s16, 0
	s_cbranch_scc1 .LBB5_118
; %bb.116:
	s_lshl_b32 s26, s24, 3
	s_mov_b32 s27, s25
	s_mul_u64 s[28:29], s[24:25], 12
	s_add_nc_u64 s[26:27], s[12:13], s[26:27]
	s_delay_alu instid0(SALU_CYCLE_1)
	s_add_nc_u64 s[24:25], s[26:27], 0xc4
	s_add_nc_u64 s[26:27], s[12:13], s[28:29]
.LBB5_117:                              ; =>This Inner Loop Header: Depth=1
	s_load_b96 s[40:42], s[26:27], 0x4
	s_load_b64 s[28:29], s[24:25], 0x0
	s_add_co_i32 s16, s16, -1
	s_wait_xcnt 0x0
	s_add_nc_u64 s[26:27], s[26:27], 12
	s_cmp_lg_u32 s16, 0
	s_add_nc_u64 s[24:25], s[24:25], 8
	s_wait_kmcnt 0x0
	v_mul_hi_u32 v4, s41, v1
	s_delay_alu instid0(VALU_DEP_1) | instskip(NEXT) | instid1(VALU_DEP_1)
	v_add_nc_u32_e32 v4, v1, v4
	v_lshrrev_b32_e32 v4, s42, v4
	s_delay_alu instid0(VALU_DEP_1) | instskip(NEXT) | instid1(VALU_DEP_1)
	v_mul_lo_u32 v5, v4, s40
	v_sub_nc_u32_e32 v1, v1, v5
	s_delay_alu instid0(VALU_DEP_1)
	v_mad_u32 v3, v1, s29, v3
	v_mad_u32 v2, v1, s28, v2
	v_mov_b32_e32 v1, v4
	s_cbranch_scc1 .LBB5_117
.LBB5_118:
	s_cbranch_execnz .LBB5_121
.LBB5_119:
	v_mov_b32_e32 v1, 0
	s_and_not1_b32 vcc_lo, exec_lo, s35
	s_delay_alu instid0(VALU_DEP_1) | instskip(NEXT) | instid1(VALU_DEP_1)
	v_mul_u64_e32 v[2:3], s[18:19], v[0:1]
	v_add_nc_u32_e32 v2, v0, v3
	s_delay_alu instid0(VALU_DEP_1) | instskip(NEXT) | instid1(VALU_DEP_1)
	v_lshrrev_b32_e32 v4, s6, v2
	v_mul_lo_u32 v2, v4, s4
	s_delay_alu instid0(VALU_DEP_1) | instskip(NEXT) | instid1(VALU_DEP_1)
	v_sub_nc_u32_e32 v2, v0, v2
	v_mul_lo_u32 v3, v2, s9
	v_mul_lo_u32 v2, v2, s8
	s_cbranch_vccnz .LBB5_121
; %bb.120:
	v_mov_b32_e32 v5, v1
	s_delay_alu instid0(VALU_DEP_1) | instskip(NEXT) | instid1(VALU_DEP_1)
	v_mul_u64_e32 v[6:7], s[20:21], v[4:5]
	v_add_nc_u32_e32 v1, v4, v7
	s_delay_alu instid0(VALU_DEP_1) | instskip(NEXT) | instid1(VALU_DEP_1)
	v_lshrrev_b32_e32 v1, s17, v1
	v_mul_lo_u32 v1, v1, s7
	s_delay_alu instid0(VALU_DEP_1) | instskip(NEXT) | instid1(VALU_DEP_1)
	v_sub_nc_u32_e32 v1, v4, v1
	v_mad_u32 v2, v1, s10, v2
	v_mad_u32 v3, v1, s11, v3
.LBB5_121:
	global_load_b64 v[6:7], v3, s[2:3]
	v_mov_b64_e32 v[4:5], 1.0
	s_mov_b32 s16, exec_lo
	s_wait_loadcnt 0x0
	v_cmpx_lt_f64_e32 s[14:15], v[6:7]
	s_cbranch_execz .LBB5_123
; %bb.122:
	v_add_f64_e32 v[4:5], 0x3e7ad7f29abcaf48, v[6:7]
	s_delay_alu instid0(VALU_DEP_1) | instskip(NEXT) | instid1(VALU_DEP_1)
	v_div_scale_f64 v[6:7], null, v[4:5], v[4:5], s[14:15]
	v_rcp_f64_e32 v[8:9], v[6:7]
	v_nop
	s_delay_alu instid0(TRANS32_DEP_1) | instskip(NEXT) | instid1(VALU_DEP_1)
	v_fma_f64 v[10:11], -v[6:7], v[8:9], 1.0
	v_fmac_f64_e32 v[8:9], v[8:9], v[10:11]
	s_delay_alu instid0(VALU_DEP_1) | instskip(NEXT) | instid1(VALU_DEP_1)
	v_fma_f64 v[10:11], -v[6:7], v[8:9], 1.0
	v_fmac_f64_e32 v[8:9], v[8:9], v[10:11]
	v_div_scale_f64 v[10:11], vcc_lo, s[14:15], v[4:5], s[14:15]
	s_delay_alu instid0(VALU_DEP_1) | instskip(NEXT) | instid1(VALU_DEP_1)
	v_mul_f64_e32 v[12:13], v[10:11], v[8:9]
	v_fma_f64 v[6:7], -v[6:7], v[12:13], v[10:11]
	s_delay_alu instid0(VALU_DEP_1) | instskip(NEXT) | instid1(VALU_DEP_1)
	v_div_fmas_f64 v[6:7], v[6:7], v[8:9], v[12:13]
	v_div_fixup_f64 v[4:5], v[6:7], v[4:5], s[14:15]
.LBB5_123:
	s_or_b32 exec_lo, exec_lo, s16
	v_add_nc_u32_e32 v0, 0x80, v0
	global_store_b64 v2, v[4:5], s[0:1]
	s_wait_xcnt 0x0
	s_or_b32 exec_lo, exec_lo, s5
	s_delay_alu instid0(SALU_CYCLE_1)
	s_mov_b32 s5, exec_lo
	v_cmpx_gt_i32_e64 s36, v0
	s_cbranch_execz .LBB5_112
.LBB5_124:
	s_and_not1_b32 vcc_lo, exec_lo, s33
	s_cbranch_vccnz .LBB5_129
; %bb.125:
	s_and_not1_b32 vcc_lo, exec_lo, s38
	s_cbranch_vccnz .LBB5_130
; %bb.126:
	s_add_co_i32 s37, s37, 1
	s_cmp_eq_u32 s31, 2
	s_cbranch_scc1 .LBB5_131
; %bb.127:
	v_dual_mov_b32 v2, 0 :: v_dual_mov_b32 v3, 0
	v_mov_b32_e32 v1, v0
	s_and_b32 s24, s37, 28
	s_mov_b32 s16, 0
	s_mov_b64 s[26:27], s[12:13]
.LBB5_128:                              ; =>This Inner Loop Header: Depth=1
	s_clause 0x1
	s_load_b256 s[40:47], s[26:27], 0x4
	s_load_b128 s[56:59], s[26:27], 0x24
	s_load_b256 s[48:55], s[22:23], 0x0
	s_add_co_i32 s16, s16, 4
	s_wait_xcnt 0x0
	s_add_nc_u64 s[26:27], s[26:27], 48
	s_cmp_eq_u32 s24, s16
	s_add_nc_u64 s[22:23], s[22:23], 32
	s_wait_kmcnt 0x0
	v_mul_hi_u32 v4, s41, v1
	s_delay_alu instid0(VALU_DEP_1) | instskip(NEXT) | instid1(VALU_DEP_1)
	v_add_nc_u32_e32 v4, v1, v4
	v_lshrrev_b32_e32 v4, s42, v4
	s_delay_alu instid0(VALU_DEP_1) | instskip(NEXT) | instid1(VALU_DEP_1)
	v_mul_hi_u32 v5, s44, v4
	v_add_nc_u32_e32 v5, v4, v5
	s_delay_alu instid0(VALU_DEP_1) | instskip(NEXT) | instid1(VALU_DEP_1)
	v_lshrrev_b32_e32 v5, s45, v5
	v_mul_hi_u32 v6, s47, v5
	s_delay_alu instid0(VALU_DEP_1) | instskip(SKIP_1) | instid1(VALU_DEP_1)
	v_add_nc_u32_e32 v6, v5, v6
	v_mul_lo_u32 v7, v4, s40
	v_sub_nc_u32_e32 v1, v1, v7
	v_mul_lo_u32 v7, v5, s43
	s_delay_alu instid0(VALU_DEP_4) | instskip(NEXT) | instid1(VALU_DEP_3)
	v_lshrrev_b32_e32 v6, s56, v6
	v_mad_u32 v3, v1, s49, v3
	v_mad_u32 v1, v1, s48, v2
	s_delay_alu instid0(VALU_DEP_4) | instskip(NEXT) | instid1(VALU_DEP_4)
	v_sub_nc_u32_e32 v2, v4, v7
	v_mul_hi_u32 v8, s58, v6
	v_mul_lo_u32 v4, v6, s46
	s_delay_alu instid0(VALU_DEP_3) | instskip(SKIP_1) | instid1(VALU_DEP_4)
	v_mad_u32 v3, v2, s51, v3
	v_mad_u32 v2, v2, s50, v1
	v_add_nc_u32_e32 v7, v6, v8
	s_delay_alu instid0(VALU_DEP_1) | instskip(NEXT) | instid1(VALU_DEP_1)
	v_dual_sub_nc_u32 v4, v5, v4 :: v_dual_lshrrev_b32 v1, s59, v7
	v_mad_u32 v3, v4, s53, v3
	s_delay_alu instid0(VALU_DEP_4) | instskip(NEXT) | instid1(VALU_DEP_3)
	v_mad_u32 v2, v4, s52, v2
	v_mul_lo_u32 v5, v1, s57
	s_delay_alu instid0(VALU_DEP_1) | instskip(NEXT) | instid1(VALU_DEP_1)
	v_sub_nc_u32_e32 v4, v6, v5
	v_mad_u32 v3, v4, s55, v3
	s_delay_alu instid0(VALU_DEP_4)
	v_mad_u32 v2, v4, s54, v2
	s_cbranch_scc0 .LBB5_128
	s_branch .LBB5_132
.LBB5_129:
                                        ; implicit-def: $vgpr3
	s_branch .LBB5_136
.LBB5_130:
	v_dual_mov_b32 v3, 0 :: v_dual_mov_b32 v2, 0
	s_branch .LBB5_135
.LBB5_131:
	v_mov_b64_e32 v[2:3], 0
	v_mov_b32_e32 v1, v0
	s_mov_b32 s24, 0
.LBB5_132:
	s_and_b32 s16, s37, 3
	s_mov_b32 s25, 0
	s_cmp_eq_u32 s16, 0
	s_cbranch_scc1 .LBB5_135
; %bb.133:
	s_lshl_b32 s22, s24, 3
	s_mov_b32 s23, s25
	s_mul_u64 s[24:25], s[24:25], 12
	s_add_nc_u64 s[22:23], s[12:13], s[22:23]
	s_add_nc_u64 s[24:25], s[12:13], s[24:25]
	s_add_nc_u64 s[22:23], s[22:23], 0xc4
.LBB5_134:                              ; =>This Inner Loop Header: Depth=1
	s_load_b96 s[36:38], s[24:25], 0x4
	s_load_b64 s[26:27], s[22:23], 0x0
	s_add_co_i32 s16, s16, -1
	s_wait_xcnt 0x0
	s_add_nc_u64 s[24:25], s[24:25], 12
	s_cmp_lg_u32 s16, 0
	s_add_nc_u64 s[22:23], s[22:23], 8
	s_wait_kmcnt 0x0
	v_mul_hi_u32 v4, s37, v1
	s_delay_alu instid0(VALU_DEP_1) | instskip(NEXT) | instid1(VALU_DEP_1)
	v_add_nc_u32_e32 v4, v1, v4
	v_lshrrev_b32_e32 v4, s38, v4
	s_delay_alu instid0(VALU_DEP_1) | instskip(NEXT) | instid1(VALU_DEP_1)
	v_mul_lo_u32 v5, v4, s36
	v_sub_nc_u32_e32 v1, v1, v5
	s_delay_alu instid0(VALU_DEP_1)
	v_mad_u32 v3, v1, s27, v3
	v_mad_u32 v2, v1, s26, v2
	v_mov_b32_e32 v1, v4
	s_cbranch_scc1 .LBB5_134
.LBB5_135:
	s_cbranch_execnz .LBB5_138
.LBB5_136:
	v_mov_b32_e32 v1, 0
	s_and_not1_b32 vcc_lo, exec_lo, s35
	s_delay_alu instid0(VALU_DEP_1) | instskip(NEXT) | instid1(VALU_DEP_1)
	v_mul_u64_e32 v[2:3], s[18:19], v[0:1]
	v_add_nc_u32_e32 v2, v0, v3
	s_delay_alu instid0(VALU_DEP_1) | instskip(NEXT) | instid1(VALU_DEP_1)
	v_lshrrev_b32_e32 v4, s6, v2
	v_mul_lo_u32 v2, v4, s4
	s_delay_alu instid0(VALU_DEP_1) | instskip(NEXT) | instid1(VALU_DEP_1)
	v_sub_nc_u32_e32 v0, v0, v2
	v_mul_lo_u32 v3, v0, s9
	v_mul_lo_u32 v2, v0, s8
	s_cbranch_vccnz .LBB5_138
; %bb.137:
	v_mov_b32_e32 v5, v1
	s_delay_alu instid0(VALU_DEP_1) | instskip(NEXT) | instid1(VALU_DEP_1)
	v_mul_u64_e32 v[0:1], s[20:21], v[4:5]
	v_add_nc_u32_e32 v0, v4, v1
	s_delay_alu instid0(VALU_DEP_1) | instskip(NEXT) | instid1(VALU_DEP_1)
	v_lshrrev_b32_e32 v0, s17, v0
	v_mul_lo_u32 v0, v0, s7
	s_delay_alu instid0(VALU_DEP_1) | instskip(NEXT) | instid1(VALU_DEP_1)
	v_sub_nc_u32_e32 v0, v4, v0
	v_mad_u32 v2, v0, s10, v2
	v_mad_u32 v3, v0, s11, v3
.LBB5_138:
	global_load_b64 v[4:5], v3, s[2:3]
	v_mov_b64_e32 v[0:1], 1.0
	s_wait_xcnt 0x0
	s_mov_b32 s2, exec_lo
	s_wait_loadcnt 0x0
	v_cmpx_lt_f64_e32 s[14:15], v[4:5]
	s_cbranch_execz .LBB5_140
; %bb.139:
	v_add_f64_e32 v[0:1], 0x3e7ad7f29abcaf48, v[4:5]
	s_delay_alu instid0(VALU_DEP_1) | instskip(NEXT) | instid1(VALU_DEP_1)
	v_div_scale_f64 v[4:5], null, v[0:1], v[0:1], s[14:15]
	v_rcp_f64_e32 v[6:7], v[4:5]
	v_nop
	s_delay_alu instid0(TRANS32_DEP_1) | instskip(NEXT) | instid1(VALU_DEP_1)
	v_fma_f64 v[8:9], -v[4:5], v[6:7], 1.0
	v_fmac_f64_e32 v[6:7], v[6:7], v[8:9]
	s_delay_alu instid0(VALU_DEP_1) | instskip(NEXT) | instid1(VALU_DEP_1)
	v_fma_f64 v[8:9], -v[4:5], v[6:7], 1.0
	v_fmac_f64_e32 v[6:7], v[6:7], v[8:9]
	v_div_scale_f64 v[8:9], vcc_lo, s[14:15], v[0:1], s[14:15]
	s_delay_alu instid0(VALU_DEP_1) | instskip(NEXT) | instid1(VALU_DEP_1)
	v_mul_f64_e32 v[10:11], v[8:9], v[6:7]
	v_fma_f64 v[4:5], -v[4:5], v[10:11], v[8:9]
	s_delay_alu instid0(VALU_DEP_1) | instskip(NEXT) | instid1(VALU_DEP_1)
	v_div_fmas_f64 v[4:5], v[4:5], v[6:7], v[10:11]
	v_div_fixup_f64 v[0:1], v[4:5], v[0:1], s[14:15]
.LBB5_140:
	s_or_b32 exec_lo, exec_lo, s2
	global_store_b64 v2, v[0:1], s[0:1]
	s_wait_xcnt 0x0
	s_or_b32 exec_lo, exec_lo, s5
                                        ; implicit-def: $vgpr8
                                        ; implicit-def: $vgpr0
	s_and_not1_saveexec_b32 s0, s34
	s_cbranch_execz .LBB5_113
	s_branch .LBB5_8
	.section	.rodata,"a",@progbits
	.p2align	6, 0x0
	.amdhsa_kernel _ZN2at6native32elementwise_kernel_manual_unrollILi128ELi4EZNS0_22gpu_kernel_impl_nocastIZZZNS0_12_GLOBAL__N_124renorm_scale_factor_implERNS_18TensorIteratorBaseEdENKUlvE_clEvENKUlvE_clEvEUldE_EEvS5_RKT_EUlibE_EEviT1_
		.amdhsa_group_segment_fixed_size 0
		.amdhsa_private_segment_fixed_size 0
		.amdhsa_kernarg_size 360
		.amdhsa_user_sgpr_count 2
		.amdhsa_user_sgpr_dispatch_ptr 0
		.amdhsa_user_sgpr_queue_ptr 0
		.amdhsa_user_sgpr_kernarg_segment_ptr 1
		.amdhsa_user_sgpr_dispatch_id 0
		.amdhsa_user_sgpr_kernarg_preload_length 0
		.amdhsa_user_sgpr_kernarg_preload_offset 0
		.amdhsa_user_sgpr_private_segment_size 0
		.amdhsa_wavefront_size32 1
		.amdhsa_uses_dynamic_stack 0
		.amdhsa_enable_private_segment 0
		.amdhsa_system_sgpr_workgroup_id_x 1
		.amdhsa_system_sgpr_workgroup_id_y 0
		.amdhsa_system_sgpr_workgroup_id_z 0
		.amdhsa_system_sgpr_workgroup_info 0
		.amdhsa_system_vgpr_workitem_id 0
		.amdhsa_next_free_vgpr 24
		.amdhsa_next_free_sgpr 60
		.amdhsa_named_barrier_count 0
		.amdhsa_reserve_vcc 1
		.amdhsa_float_round_mode_32 0
		.amdhsa_float_round_mode_16_64 0
		.amdhsa_float_denorm_mode_32 3
		.amdhsa_float_denorm_mode_16_64 3
		.amdhsa_fp16_overflow 0
		.amdhsa_memory_ordered 1
		.amdhsa_forward_progress 1
		.amdhsa_inst_pref_size 57
		.amdhsa_round_robin_scheduling 0
		.amdhsa_exception_fp_ieee_invalid_op 0
		.amdhsa_exception_fp_denorm_src 0
		.amdhsa_exception_fp_ieee_div_zero 0
		.amdhsa_exception_fp_ieee_overflow 0
		.amdhsa_exception_fp_ieee_underflow 0
		.amdhsa_exception_fp_ieee_inexact 0
		.amdhsa_exception_int_div_zero 0
	.end_amdhsa_kernel
	.section	.text._ZN2at6native32elementwise_kernel_manual_unrollILi128ELi4EZNS0_22gpu_kernel_impl_nocastIZZZNS0_12_GLOBAL__N_124renorm_scale_factor_implERNS_18TensorIteratorBaseEdENKUlvE_clEvENKUlvE_clEvEUldE_EEvS5_RKT_EUlibE_EEviT1_,"axG",@progbits,_ZN2at6native32elementwise_kernel_manual_unrollILi128ELi4EZNS0_22gpu_kernel_impl_nocastIZZZNS0_12_GLOBAL__N_124renorm_scale_factor_implERNS_18TensorIteratorBaseEdENKUlvE_clEvENKUlvE_clEvEUldE_EEvS5_RKT_EUlibE_EEviT1_,comdat
.Lfunc_end5:
	.size	_ZN2at6native32elementwise_kernel_manual_unrollILi128ELi4EZNS0_22gpu_kernel_impl_nocastIZZZNS0_12_GLOBAL__N_124renorm_scale_factor_implERNS_18TensorIteratorBaseEdENKUlvE_clEvENKUlvE_clEvEUldE_EEvS5_RKT_EUlibE_EEviT1_, .Lfunc_end5-_ZN2at6native32elementwise_kernel_manual_unrollILi128ELi4EZNS0_22gpu_kernel_impl_nocastIZZZNS0_12_GLOBAL__N_124renorm_scale_factor_implERNS_18TensorIteratorBaseEdENKUlvE_clEvENKUlvE_clEvEUldE_EEvS5_RKT_EUlibE_EEviT1_
                                        ; -- End function
	.set _ZN2at6native32elementwise_kernel_manual_unrollILi128ELi4EZNS0_22gpu_kernel_impl_nocastIZZZNS0_12_GLOBAL__N_124renorm_scale_factor_implERNS_18TensorIteratorBaseEdENKUlvE_clEvENKUlvE_clEvEUldE_EEvS5_RKT_EUlibE_EEviT1_.num_vgpr, 24
	.set _ZN2at6native32elementwise_kernel_manual_unrollILi128ELi4EZNS0_22gpu_kernel_impl_nocastIZZZNS0_12_GLOBAL__N_124renorm_scale_factor_implERNS_18TensorIteratorBaseEdENKUlvE_clEvENKUlvE_clEvEUldE_EEvS5_RKT_EUlibE_EEviT1_.num_agpr, 0
	.set _ZN2at6native32elementwise_kernel_manual_unrollILi128ELi4EZNS0_22gpu_kernel_impl_nocastIZZZNS0_12_GLOBAL__N_124renorm_scale_factor_implERNS_18TensorIteratorBaseEdENKUlvE_clEvENKUlvE_clEvEUldE_EEvS5_RKT_EUlibE_EEviT1_.numbered_sgpr, 60
	.set _ZN2at6native32elementwise_kernel_manual_unrollILi128ELi4EZNS0_22gpu_kernel_impl_nocastIZZZNS0_12_GLOBAL__N_124renorm_scale_factor_implERNS_18TensorIteratorBaseEdENKUlvE_clEvENKUlvE_clEvEUldE_EEvS5_RKT_EUlibE_EEviT1_.num_named_barrier, 0
	.set _ZN2at6native32elementwise_kernel_manual_unrollILi128ELi4EZNS0_22gpu_kernel_impl_nocastIZZZNS0_12_GLOBAL__N_124renorm_scale_factor_implERNS_18TensorIteratorBaseEdENKUlvE_clEvENKUlvE_clEvEUldE_EEvS5_RKT_EUlibE_EEviT1_.private_seg_size, 0
	.set _ZN2at6native32elementwise_kernel_manual_unrollILi128ELi4EZNS0_22gpu_kernel_impl_nocastIZZZNS0_12_GLOBAL__N_124renorm_scale_factor_implERNS_18TensorIteratorBaseEdENKUlvE_clEvENKUlvE_clEvEUldE_EEvS5_RKT_EUlibE_EEviT1_.uses_vcc, 1
	.set _ZN2at6native32elementwise_kernel_manual_unrollILi128ELi4EZNS0_22gpu_kernel_impl_nocastIZZZNS0_12_GLOBAL__N_124renorm_scale_factor_implERNS_18TensorIteratorBaseEdENKUlvE_clEvENKUlvE_clEvEUldE_EEvS5_RKT_EUlibE_EEviT1_.uses_flat_scratch, 0
	.set _ZN2at6native32elementwise_kernel_manual_unrollILi128ELi4EZNS0_22gpu_kernel_impl_nocastIZZZNS0_12_GLOBAL__N_124renorm_scale_factor_implERNS_18TensorIteratorBaseEdENKUlvE_clEvENKUlvE_clEvEUldE_EEvS5_RKT_EUlibE_EEviT1_.has_dyn_sized_stack, 0
	.set _ZN2at6native32elementwise_kernel_manual_unrollILi128ELi4EZNS0_22gpu_kernel_impl_nocastIZZZNS0_12_GLOBAL__N_124renorm_scale_factor_implERNS_18TensorIteratorBaseEdENKUlvE_clEvENKUlvE_clEvEUldE_EEvS5_RKT_EUlibE_EEviT1_.has_recursion, 0
	.set _ZN2at6native32elementwise_kernel_manual_unrollILi128ELi4EZNS0_22gpu_kernel_impl_nocastIZZZNS0_12_GLOBAL__N_124renorm_scale_factor_implERNS_18TensorIteratorBaseEdENKUlvE_clEvENKUlvE_clEvEUldE_EEvS5_RKT_EUlibE_EEviT1_.has_indirect_call, 0
	.section	.AMDGPU.csdata,"",@progbits
; Kernel info:
; codeLenInByte = 7288
; TotalNumSgprs: 62
; NumVgprs: 24
; ScratchSize: 0
; MemoryBound: 0
; FloatMode: 240
; IeeeMode: 1
; LDSByteSize: 0 bytes/workgroup (compile time only)
; SGPRBlocks: 0
; VGPRBlocks: 1
; NumSGPRsForWavesPerEU: 62
; NumVGPRsForWavesPerEU: 24
; NamedBarCnt: 0
; Occupancy: 16
; WaveLimiterHint : 1
; COMPUTE_PGM_RSRC2:SCRATCH_EN: 0
; COMPUTE_PGM_RSRC2:USER_SGPR: 2
; COMPUTE_PGM_RSRC2:TRAP_HANDLER: 0
; COMPUTE_PGM_RSRC2:TGID_X_EN: 1
; COMPUTE_PGM_RSRC2:TGID_Y_EN: 0
; COMPUTE_PGM_RSRC2:TGID_Z_EN: 0
; COMPUTE_PGM_RSRC2:TIDIG_COMP_CNT: 0
	.section	.text._ZN2at6native32elementwise_kernel_manual_unrollILi128ELi4EZNS0_15gpu_kernel_implIZZZNS0_12_GLOBAL__N_124renorm_scale_factor_implERNS_18TensorIteratorBaseEdENKUlvE_clEvENKUlvE_clEvEUldE_EEvS5_RKT_EUlibE_EEviT1_,"axG",@progbits,_ZN2at6native32elementwise_kernel_manual_unrollILi128ELi4EZNS0_15gpu_kernel_implIZZZNS0_12_GLOBAL__N_124renorm_scale_factor_implERNS_18TensorIteratorBaseEdENKUlvE_clEvENKUlvE_clEvEUldE_EEvS5_RKT_EUlibE_EEviT1_,comdat
	.globl	_ZN2at6native32elementwise_kernel_manual_unrollILi128ELi4EZNS0_15gpu_kernel_implIZZZNS0_12_GLOBAL__N_124renorm_scale_factor_implERNS_18TensorIteratorBaseEdENKUlvE_clEvENKUlvE_clEvEUldE_EEvS5_RKT_EUlibE_EEviT1_ ; -- Begin function _ZN2at6native32elementwise_kernel_manual_unrollILi128ELi4EZNS0_15gpu_kernel_implIZZZNS0_12_GLOBAL__N_124renorm_scale_factor_implERNS_18TensorIteratorBaseEdENKUlvE_clEvENKUlvE_clEvEUldE_EEvS5_RKT_EUlibE_EEviT1_
	.p2align	8
	.type	_ZN2at6native32elementwise_kernel_manual_unrollILi128ELi4EZNS0_15gpu_kernel_implIZZZNS0_12_GLOBAL__N_124renorm_scale_factor_implERNS_18TensorIteratorBaseEdENKUlvE_clEvENKUlvE_clEvEUldE_EEvS5_RKT_EUlibE_EEviT1_,@function
_ZN2at6native32elementwise_kernel_manual_unrollILi128ELi4EZNS0_15gpu_kernel_implIZZZNS0_12_GLOBAL__N_124renorm_scale_factor_implERNS_18TensorIteratorBaseEdENKUlvE_clEvENKUlvE_clEvEUldE_EEvS5_RKT_EUlibE_EEviT1_: ; @_ZN2at6native32elementwise_kernel_manual_unrollILi128ELi4EZNS0_15gpu_kernel_implIZZZNS0_12_GLOBAL__N_124renorm_scale_factor_implERNS_18TensorIteratorBaseEdENKUlvE_clEvENKUlvE_clEvEUldE_EEvS5_RKT_EUlibE_EEviT1_
; %bb.0:
	s_load_b32 s2, s[0:1], 0x28
	s_bfe_u32 s3, ttmp6, 0x4000c
	s_clause 0x1
	s_load_b32 s14, s[0:1], 0x0
	s_load_b256 s[4:11], s[0:1], 0x8
	s_add_co_i32 s3, s3, 1
	s_and_b32 s12, ttmp6, 15
	s_wait_xcnt 0x0
	s_mul_i32 s0, ttmp9, s3
	s_getreg_b32 s13, hwreg(HW_REG_IB_STS2, 6, 4)
	s_add_co_i32 s12, s12, s0
	s_mov_b32 s1, 0
	s_wait_kmcnt 0x0
	s_bfe_u32 s3, s2, 0x80008
	s_cmp_eq_u32 s13, 0
	s_mov_b32 s13, 0
	s_cselect_b32 s0, ttmp9, s12
	s_delay_alu instid0(SALU_CYCLE_1) | instskip(SKIP_1) | instid1(VALU_DEP_1)
	v_lshl_or_b32 v10, s0, 9, v0
	s_mov_b32 s0, exec_lo
	v_or_b32_e32 v0, 0x180, v10
	s_delay_alu instid0(VALU_DEP_1)
	v_cmpx_le_i32_e64 s14, v0
	s_xor_b32 s12, exec_lo, s0
	s_cbranch_execz .LBB6_1039
; %bb.1:
	s_mov_b32 s19, -1
	s_mov_b32 s17, 0
	s_mov_b32 s15, 0
	s_mov_b32 s16, exec_lo
	v_cmpx_gt_i32_e64 s14, v10
	s_cbranch_execz .LBB6_254
; %bb.2:
	v_mul_lo_u32 v0, v10, s9
	s_and_b32 s0, 0xffff, s3
	s_delay_alu instid0(SALU_CYCLE_1) | instskip(NEXT) | instid1(VALU_DEP_1)
	s_cmp_lt_i32 s0, 11
	v_ashrrev_i32_e32 v1, 31, v0
	s_delay_alu instid0(VALU_DEP_1)
	v_add_nc_u64_e32 v[0:1], s[6:7], v[0:1]
	s_cbranch_scc1 .LBB6_9
; %bb.3:
	s_cmp_gt_i32 s0, 25
	s_cbranch_scc0 .LBB6_20
; %bb.4:
	s_cmp_gt_i32 s0, 28
	s_cbranch_scc0 .LBB6_23
	;; [unrolled: 3-line block ×4, first 2 shown]
; %bb.7:
	s_cmp_eq_u32 s0, 46
	s_mov_b32 s18, 0
	s_cbranch_scc0 .LBB6_29
; %bb.8:
	global_load_b32 v2, v[0:1], off
	s_mov_b32 s13, -1
	s_wait_loadcnt 0x0
	v_lshlrev_b32_e32 v2, 16, v2
	s_delay_alu instid0(VALU_DEP_1)
	v_cvt_f64_f32_e32 v[2:3], v2
	s_branch .LBB6_31
.LBB6_9:
                                        ; implicit-def: $vgpr2_vgpr3
	s_cbranch_execnz .LBB6_204
.LBB6_10:
	s_and_not1_b32 vcc_lo, exec_lo, s13
	s_cbranch_vccnz .LBB6_251
.LBB6_11:
	s_wait_xcnt 0x0
	v_mov_b64_e32 v[0:1], 1.0
	s_mov_b32 s0, exec_lo
	s_wait_loadcnt 0x0
	s_delay_alu instid0(VALU_DEP_2)
	v_cmpx_lt_f64_e32 s[10:11], v[2:3]
	s_cbranch_execz .LBB6_13
; %bb.12:
	v_add_f64_e32 v[0:1], 0x3e7ad7f29abcaf48, v[2:3]
	s_delay_alu instid0(VALU_DEP_1) | instskip(NEXT) | instid1(VALU_DEP_1)
	v_div_scale_f64 v[2:3], null, v[0:1], v[0:1], s[10:11]
	v_rcp_f64_e32 v[4:5], v[2:3]
	v_nop
	s_delay_alu instid0(TRANS32_DEP_1) | instskip(NEXT) | instid1(VALU_DEP_1)
	v_fma_f64 v[6:7], -v[2:3], v[4:5], 1.0
	v_fmac_f64_e32 v[4:5], v[4:5], v[6:7]
	s_delay_alu instid0(VALU_DEP_1) | instskip(NEXT) | instid1(VALU_DEP_1)
	v_fma_f64 v[6:7], -v[2:3], v[4:5], 1.0
	v_fmac_f64_e32 v[4:5], v[4:5], v[6:7]
	v_div_scale_f64 v[6:7], vcc_lo, s[10:11], v[0:1], s[10:11]
	s_delay_alu instid0(VALU_DEP_1) | instskip(NEXT) | instid1(VALU_DEP_1)
	v_mul_f64_e32 v[8:9], v[6:7], v[4:5]
	v_fma_f64 v[2:3], -v[2:3], v[8:9], v[6:7]
	s_delay_alu instid0(VALU_DEP_1) | instskip(NEXT) | instid1(VALU_DEP_1)
	v_div_fmas_f64 v[2:3], v[2:3], v[4:5], v[8:9]
	v_div_fixup_f64 v[0:1], v[2:3], v[0:1], s[10:11]
.LBB6_13:
	s_or_b32 exec_lo, exec_lo, s0
	v_mul_lo_u32 v2, v10, s8
	s_and_b32 s13, s2, 0xff
	s_delay_alu instid0(SALU_CYCLE_1) | instskip(NEXT) | instid1(VALU_DEP_1)
	s_cmp_lt_i32 s13, 11
	v_ashrrev_i32_e32 v3, 31, v2
	s_delay_alu instid0(VALU_DEP_1)
	v_add_nc_u64_e32 v[4:5], s[4:5], v[2:3]
	s_cbranch_scc1 .LBB6_21
; %bb.14:
	s_and_b32 s18, 0xffff, s13
	s_delay_alu instid0(SALU_CYCLE_1)
	s_cmp_gt_i32 s18, 25
	s_cbranch_scc0 .LBB6_24
; %bb.15:
	s_cmp_gt_i32 s18, 28
	s_cbranch_scc0 .LBB6_26
; %bb.16:
	;; [unrolled: 3-line block ×4, first 2 shown]
	s_mov_b32 s20, 0
	s_mov_b32 s0, -1
	s_cmp_eq_u32 s18, 46
	s_mov_b32 s19, 0
	s_cbranch_scc0 .LBB6_35
; %bb.19:
	s_delay_alu instid0(VALU_DEP_4) | instskip(SKIP_2) | instid1(VALU_DEP_1)
	v_cvt_f32_f64_e32 v2, v[0:1]
	s_mov_b32 s19, -1
	s_mov_b32 s0, 0
	v_bfe_u32 v3, v2, 16, 1
	v_cmp_o_f32_e32 vcc_lo, v2, v2
	s_delay_alu instid0(VALU_DEP_2) | instskip(NEXT) | instid1(VALU_DEP_1)
	v_add3_u32 v3, v2, v3, 0x7fff
	v_lshrrev_b32_e32 v3, 16, v3
	s_delay_alu instid0(VALU_DEP_1)
	v_cndmask_b32_e32 v2, 0x7fc0, v3, vcc_lo
	global_store_b32 v[4:5], v2, off
	s_branch .LBB6_35
.LBB6_20:
                                        ; implicit-def: $vgpr2_vgpr3
	s_cbranch_execnz .LBB6_169
	s_branch .LBB6_203
.LBB6_21:
	s_mov_b32 s0, 0
	s_mov_b32 s19, 0
	s_cbranch_execnz .LBB6_104
.LBB6_22:
	s_and_not1_b32 vcc_lo, exec_lo, s19
	s_cbranch_vccnz .LBB6_252
	s_branch .LBB6_142
.LBB6_23:
	s_mov_b32 s18, -1
                                        ; implicit-def: $vgpr2_vgpr3
	s_branch .LBB6_150
.LBB6_24:
	s_mov_b32 s20, -1
	s_mov_b32 s0, 0
	s_mov_b32 s19, 0
	s_branch .LBB6_62
.LBB6_25:
	s_mov_b32 s18, -1
                                        ; implicit-def: $vgpr2_vgpr3
	s_branch .LBB6_145
.LBB6_26:
	s_mov_b32 s20, -1
	s_mov_b32 s0, 0
	s_mov_b32 s19, 0
	s_branch .LBB6_45
.LBB6_27:
	s_mov_b32 s18, -1
	s_branch .LBB6_30
.LBB6_28:
	s_mov_b32 s20, -1
	s_mov_b32 s0, 0
	s_mov_b32 s19, 0
	s_branch .LBB6_41
.LBB6_29:
	s_mov_b32 s15, -1
.LBB6_30:
                                        ; implicit-def: $vgpr2_vgpr3
.LBB6_31:
	s_and_b32 vcc_lo, exec_lo, s18
	s_cbranch_vccz .LBB6_144
; %bb.32:
	s_cmp_eq_u32 s0, 44
	s_cbranch_scc0 .LBB6_143
; %bb.33:
	global_load_u8 v4, v[0:1], off
	s_mov_b32 s15, 0
	s_mov_b32 s13, -1
	s_wait_loadcnt 0x0
	v_cmp_ne_u32_e32 vcc_lo, 0xff, v4
	v_lshlrev_b32_e32 v2, 23, v4
	s_delay_alu instid0(VALU_DEP_1) | instskip(NEXT) | instid1(VALU_DEP_1)
	v_cvt_f64_f32_e32 v[2:3], v2
	v_cndmask_b32_e32 v2, 0x20000000, v2, vcc_lo
	s_delay_alu instid0(VALU_DEP_2) | instskip(SKIP_1) | instid1(VALU_DEP_2)
	v_cndmask_b32_e32 v3, 0x7ff80000, v3, vcc_lo
	v_cmp_ne_u32_e32 vcc_lo, 0, v4
	v_cndmask_b32_e32 v3, 0x38000000, v3, vcc_lo
	s_delay_alu instid0(VALU_DEP_4)
	v_cndmask_b32_e32 v2, 0, v2, vcc_lo
	s_branch .LBB6_144
.LBB6_34:
	s_mov_b32 s20, -1
	s_mov_b32 s0, 0
	s_mov_b32 s19, 0
.LBB6_35:
	s_and_b32 vcc_lo, exec_lo, s20
	s_cbranch_vccz .LBB6_40
; %bb.36:
	s_cmp_eq_u32 s18, 44
	s_mov_b32 s0, -1
	s_cbranch_scc0 .LBB6_40
; %bb.37:
	s_wait_xcnt 0x0
	s_delay_alu instid0(VALU_DEP_4) | instskip(SKIP_2) | instid1(VALU_DEP_2)
	v_cvt_f32_f64_e32 v2, v[0:1]
	v_mov_b32_e32 v3, 0xff
	s_mov_b32 s19, exec_lo
	v_bfe_u32 v6, v2, 23, 8
	s_delay_alu instid0(VALU_DEP_1)
	v_cmpx_ne_u32_e32 0xff, v6
	s_cbranch_execz .LBB6_39
; %bb.38:
	v_and_b32_e32 v3, 0x400000, v2
	v_and_or_b32 v6, 0x3fffff, v2, v6
	v_lshrrev_b32_e32 v2, 23, v2
	s_delay_alu instid0(VALU_DEP_3) | instskip(NEXT) | instid1(VALU_DEP_3)
	v_cmp_ne_u32_e32 vcc_lo, 0, v3
	v_cmp_ne_u32_e64 s0, 0, v6
	s_and_b32 s0, vcc_lo, s0
	s_delay_alu instid0(SALU_CYCLE_1) | instskip(NEXT) | instid1(VALU_DEP_1)
	v_cndmask_b32_e64 v3, 0, 1, s0
	v_add_nc_u32_e32 v3, v2, v3
.LBB6_39:
	s_or_b32 exec_lo, exec_lo, s19
	s_mov_b32 s19, -1
	s_mov_b32 s0, 0
	global_store_b8 v[4:5], v3, off
.LBB6_40:
	s_mov_b32 s20, 0
.LBB6_41:
	s_delay_alu instid0(SALU_CYCLE_1)
	s_and_b32 vcc_lo, exec_lo, s20
	s_cbranch_vccz .LBB6_44
; %bb.42:
	s_cmp_eq_u32 s18, 29
	s_mov_b32 s0, -1
	s_cbranch_scc0 .LBB6_44
; %bb.43:
	s_wait_xcnt 0x0
	s_delay_alu instid0(VALU_DEP_4) | instskip(SKIP_3) | instid1(VALU_DEP_1)
	v_trunc_f64_e32 v[2:3], v[0:1]
	s_mov_b32 s19, -1
	s_mov_b32 s0, 0
	s_mov_b32 s20, 0
	v_ldexp_f64 v[6:7], v[2:3], 0xffffffe0
	s_delay_alu instid0(VALU_DEP_1) | instskip(NEXT) | instid1(VALU_DEP_1)
	v_floor_f64_e32 v[6:7], v[6:7]
	v_fmamk_f64 v[2:3], v[6:7], 0xc1f00000, v[2:3]
	v_cvt_u32_f64_e32 v7, v[6:7]
	s_delay_alu instid0(VALU_DEP_2)
	v_cvt_u32_f64_e32 v6, v[2:3]
	global_store_b64 v[4:5], v[6:7], off
	s_branch .LBB6_45
.LBB6_44:
	s_mov_b32 s20, 0
.LBB6_45:
	s_delay_alu instid0(SALU_CYCLE_1)
	s_and_b32 vcc_lo, exec_lo, s20
	s_cbranch_vccz .LBB6_61
; %bb.46:
	s_cmp_lt_i32 s18, 27
	s_mov_b32 s19, -1
	s_cbranch_scc1 .LBB6_52
; %bb.47:
	s_wait_xcnt 0x0
	s_delay_alu instid0(VALU_DEP_4)
	v_cvt_u32_f64_e32 v2, v[0:1]
	s_cmp_gt_i32 s18, 27
	s_cbranch_scc0 .LBB6_49
; %bb.48:
	s_mov_b32 s19, 0
	global_store_b32 v[4:5], v2, off
.LBB6_49:
	s_and_not1_b32 vcc_lo, exec_lo, s19
	s_cbranch_vccnz .LBB6_51
; %bb.50:
	global_store_b16 v[4:5], v2, off
.LBB6_51:
	s_mov_b32 s19, 0
.LBB6_52:
	s_delay_alu instid0(SALU_CYCLE_1)
	s_and_not1_b32 vcc_lo, exec_lo, s19
	s_cbranch_vccnz .LBB6_60
; %bb.53:
	s_wait_xcnt 0x0
	s_delay_alu instid0(VALU_DEP_4) | instskip(SKIP_2) | instid1(VALU_DEP_2)
	v_cvt_f32_f64_e32 v2, v[0:1]
	v_mov_b32_e32 v6, 0x80
	s_mov_b32 s19, exec_lo
	v_and_b32_e32 v3, 0x7fffffff, v2
	s_delay_alu instid0(VALU_DEP_1)
	v_cmpx_gt_u32_e32 0x43800000, v3
	s_cbranch_execz .LBB6_59
; %bb.54:
	v_cmp_lt_u32_e32 vcc_lo, 0x3bffffff, v3
	s_mov_b32 s20, 0
                                        ; implicit-def: $vgpr3
	s_and_saveexec_b32 s21, vcc_lo
	s_delay_alu instid0(SALU_CYCLE_1)
	s_xor_b32 s21, exec_lo, s21
	s_cbranch_execz .LBB6_283
; %bb.55:
	v_bfe_u32 v3, v2, 20, 1
	s_mov_b32 s20, exec_lo
	s_delay_alu instid0(VALU_DEP_1) | instskip(NEXT) | instid1(VALU_DEP_1)
	v_add3_u32 v3, v2, v3, 0x487ffff
	v_lshrrev_b32_e32 v3, 20, v3
	s_and_not1_saveexec_b32 s21, s21
	s_cbranch_execnz .LBB6_284
.LBB6_56:
	s_or_b32 exec_lo, exec_lo, s21
	v_mov_b32_e32 v6, 0
	s_and_saveexec_b32 s21, s20
.LBB6_57:
	v_lshrrev_b32_e32 v2, 24, v2
	s_delay_alu instid0(VALU_DEP_1)
	v_and_or_b32 v6, 0x80, v2, v3
.LBB6_58:
	s_or_b32 exec_lo, exec_lo, s21
.LBB6_59:
	s_delay_alu instid0(SALU_CYCLE_1)
	s_or_b32 exec_lo, exec_lo, s19
	global_store_b8 v[4:5], v6, off
.LBB6_60:
	s_mov_b32 s19, -1
.LBB6_61:
	s_mov_b32 s20, 0
.LBB6_62:
	s_delay_alu instid0(SALU_CYCLE_1)
	s_and_b32 vcc_lo, exec_lo, s20
	s_cbranch_vccz .LBB6_103
; %bb.63:
	s_cmp_gt_i32 s18, 22
	s_mov_b32 s20, -1
	s_cbranch_scc0 .LBB6_95
; %bb.64:
	s_cmp_lt_i32 s18, 24
	s_mov_b32 s19, -1
	s_cbranch_scc1 .LBB6_84
; %bb.65:
	s_cmp_gt_i32 s18, 24
	s_cbranch_scc0 .LBB6_73
; %bb.66:
	s_wait_xcnt 0x0
	s_delay_alu instid0(VALU_DEP_4) | instskip(SKIP_2) | instid1(VALU_DEP_2)
	v_cvt_f32_f64_e32 v2, v[0:1]
	v_mov_b32_e32 v6, 0x80
	s_mov_b32 s19, exec_lo
	v_and_b32_e32 v3, 0x7fffffff, v2
	s_delay_alu instid0(VALU_DEP_1)
	v_cmpx_gt_u32_e32 0x47800000, v3
	s_cbranch_execz .LBB6_72
; %bb.67:
	v_cmp_lt_u32_e32 vcc_lo, 0x37ffffff, v3
	s_mov_b32 s20, 0
                                        ; implicit-def: $vgpr3
	s_and_saveexec_b32 s21, vcc_lo
	s_delay_alu instid0(SALU_CYCLE_1)
	s_xor_b32 s21, exec_lo, s21
	s_cbranch_execz .LBB6_287
; %bb.68:
	v_bfe_u32 v3, v2, 21, 1
	s_mov_b32 s20, exec_lo
	s_delay_alu instid0(VALU_DEP_1) | instskip(NEXT) | instid1(VALU_DEP_1)
	v_add3_u32 v3, v2, v3, 0x88fffff
	v_lshrrev_b32_e32 v3, 21, v3
	s_and_not1_saveexec_b32 s21, s21
	s_cbranch_execnz .LBB6_288
.LBB6_69:
	s_or_b32 exec_lo, exec_lo, s21
	v_mov_b32_e32 v6, 0
	s_and_saveexec_b32 s21, s20
.LBB6_70:
	v_lshrrev_b32_e32 v2, 24, v2
	s_delay_alu instid0(VALU_DEP_1)
	v_and_or_b32 v6, 0x80, v2, v3
.LBB6_71:
	s_or_b32 exec_lo, exec_lo, s21
.LBB6_72:
	s_delay_alu instid0(SALU_CYCLE_1)
	s_or_b32 exec_lo, exec_lo, s19
	s_mov_b32 s19, 0
	global_store_b8 v[4:5], v6, off
.LBB6_73:
	s_and_b32 vcc_lo, exec_lo, s19
	s_cbranch_vccz .LBB6_83
; %bb.74:
	s_wait_xcnt 0x0
	s_delay_alu instid0(VALU_DEP_4) | instskip(SKIP_1) | instid1(VALU_DEP_1)
	v_cvt_f32_f64_e32 v2, v[0:1]
	s_mov_b32 s19, exec_lo
                                        ; implicit-def: $vgpr3
	v_and_b32_e32 v6, 0x7fffffff, v2
	s_delay_alu instid0(VALU_DEP_1)
	v_cmpx_gt_u32_e32 0x43f00000, v6
	s_xor_b32 s19, exec_lo, s19
	s_cbranch_execz .LBB6_80
; %bb.75:
	s_mov_b32 s20, exec_lo
                                        ; implicit-def: $vgpr3
	v_cmpx_lt_u32_e32 0x3c7fffff, v6
	s_xor_b32 s20, exec_lo, s20
; %bb.76:
	v_bfe_u32 v3, v2, 20, 1
	s_delay_alu instid0(VALU_DEP_1) | instskip(NEXT) | instid1(VALU_DEP_1)
	v_add3_u32 v3, v2, v3, 0x407ffff
	v_and_b32_e32 v6, 0xff00000, v3
	v_lshrrev_b32_e32 v3, 20, v3
	s_delay_alu instid0(VALU_DEP_2) | instskip(NEXT) | instid1(VALU_DEP_2)
	v_cmp_ne_u32_e32 vcc_lo, 0x7f00000, v6
	v_cndmask_b32_e32 v3, 0x7e, v3, vcc_lo
; %bb.77:
	s_and_not1_saveexec_b32 s20, s20
; %bb.78:
	v_add_f32_e64 v3, 0x46800000, |v2|
; %bb.79:
	s_or_b32 exec_lo, exec_lo, s20
                                        ; implicit-def: $vgpr6
.LBB6_80:
	s_and_not1_saveexec_b32 s19, s19
; %bb.81:
	v_mov_b32_e32 v3, 0x7f
	v_cmp_lt_u32_e32 vcc_lo, 0x7f800000, v6
	s_delay_alu instid0(VALU_DEP_2)
	v_cndmask_b32_e32 v3, 0x7e, v3, vcc_lo
; %bb.82:
	s_or_b32 exec_lo, exec_lo, s19
	v_lshrrev_b32_e32 v2, 24, v2
	s_delay_alu instid0(VALU_DEP_1)
	v_and_or_b32 v2, 0x80, v2, v3
	global_store_b8 v[4:5], v2, off
.LBB6_83:
	s_mov_b32 s19, 0
.LBB6_84:
	s_delay_alu instid0(SALU_CYCLE_1)
	s_and_not1_b32 vcc_lo, exec_lo, s19
	s_cbranch_vccnz .LBB6_94
; %bb.85:
	s_wait_xcnt 0x0
	s_delay_alu instid0(VALU_DEP_4) | instskip(SKIP_1) | instid1(VALU_DEP_1)
	v_cvt_f32_f64_e32 v2, v[0:1]
	s_mov_b32 s19, exec_lo
                                        ; implicit-def: $vgpr3
	v_and_b32_e32 v6, 0x7fffffff, v2
	s_delay_alu instid0(VALU_DEP_1)
	v_cmpx_gt_u32_e32 0x47800000, v6
	s_xor_b32 s19, exec_lo, s19
	s_cbranch_execz .LBB6_91
; %bb.86:
	s_mov_b32 s20, exec_lo
                                        ; implicit-def: $vgpr3
	v_cmpx_lt_u32_e32 0x387fffff, v6
	s_xor_b32 s20, exec_lo, s20
; %bb.87:
	v_bfe_u32 v3, v2, 21, 1
	s_delay_alu instid0(VALU_DEP_1) | instskip(NEXT) | instid1(VALU_DEP_1)
	v_add3_u32 v3, v2, v3, 0x80fffff
	v_lshrrev_b32_e32 v3, 21, v3
; %bb.88:
	s_and_not1_saveexec_b32 s20, s20
; %bb.89:
	v_add_f32_e64 v3, 0x43000000, |v2|
; %bb.90:
	s_or_b32 exec_lo, exec_lo, s20
                                        ; implicit-def: $vgpr6
.LBB6_91:
	s_and_not1_saveexec_b32 s19, s19
; %bb.92:
	v_mov_b32_e32 v3, 0x7f
	v_cmp_lt_u32_e32 vcc_lo, 0x7f800000, v6
	s_delay_alu instid0(VALU_DEP_2)
	v_cndmask_b32_e32 v3, 0x7c, v3, vcc_lo
; %bb.93:
	s_or_b32 exec_lo, exec_lo, s19
	v_lshrrev_b32_e32 v2, 24, v2
	s_delay_alu instid0(VALU_DEP_1)
	v_and_or_b32 v2, 0x80, v2, v3
	global_store_b8 v[4:5], v2, off
.LBB6_94:
	s_mov_b32 s20, 0
	s_mov_b32 s19, -1
.LBB6_95:
	s_and_not1_b32 vcc_lo, exec_lo, s20
	s_cbranch_vccnz .LBB6_103
; %bb.96:
	s_cmp_gt_i32 s18, 14
	s_mov_b32 s20, -1
	s_cbranch_scc0 .LBB6_100
; %bb.97:
	s_cmp_eq_u32 s18, 15
	s_mov_b32 s0, -1
	s_cbranch_scc0 .LBB6_99
; %bb.98:
	s_wait_xcnt 0x0
	s_delay_alu instid0(VALU_DEP_4) | instskip(SKIP_2) | instid1(VALU_DEP_1)
	v_cvt_f32_f64_e32 v2, v[0:1]
	s_mov_b32 s19, -1
	s_mov_b32 s0, 0
	v_bfe_u32 v3, v2, 16, 1
	v_cmp_o_f32_e32 vcc_lo, v2, v2
	s_delay_alu instid0(VALU_DEP_2) | instskip(NEXT) | instid1(VALU_DEP_1)
	v_add3_u32 v3, v2, v3, 0x7fff
	v_lshrrev_b32_e32 v3, 16, v3
	s_delay_alu instid0(VALU_DEP_1)
	v_cndmask_b32_e32 v2, 0x7fc0, v3, vcc_lo
	global_store_b16 v[4:5], v2, off
.LBB6_99:
	s_mov_b32 s20, 0
.LBB6_100:
	s_delay_alu instid0(SALU_CYCLE_1)
	s_and_b32 vcc_lo, exec_lo, s20
	s_cbranch_vccz .LBB6_103
; %bb.101:
	s_cmp_eq_u32 s18, 11
	s_mov_b32 s0, -1
	s_cbranch_scc0 .LBB6_103
; %bb.102:
	s_delay_alu instid0(VALU_DEP_4)
	v_cmp_neq_f64_e32 vcc_lo, 0, v[0:1]
	s_mov_b32 s19, -1
	s_mov_b32 s0, 0
	s_wait_xcnt 0x0
	v_cndmask_b32_e64 v2, 0, 1, vcc_lo
	global_store_b8 v[4:5], v2, off
.LBB6_103:
	s_branch .LBB6_22
.LBB6_104:
	s_and_b32 s13, 0xffff, s13
	s_mov_b32 s18, -1
	s_cmp_lt_i32 s13, 5
	s_cbranch_scc1 .LBB6_125
; %bb.105:
	s_cmp_lt_i32 s13, 8
	s_cbranch_scc1 .LBB6_115
; %bb.106:
	;; [unrolled: 3-line block ×3, first 2 shown]
	s_cmp_gt_i32 s13, 9
	s_cbranch_scc0 .LBB6_109
; %bb.108:
	s_wait_xcnt 0x0
	v_mov_b32_e32 v2, 0
	s_mov_b32 s18, 0
	s_delay_alu instid0(VALU_DEP_1)
	v_mov_b32_e32 v3, v2
	global_store_b128 v[4:5], v[0:3], off
.LBB6_109:
	s_and_not1_b32 vcc_lo, exec_lo, s18
	s_cbranch_vccnz .LBB6_111
; %bb.110:
	s_wait_xcnt 0x0
	s_delay_alu instid0(VALU_DEP_4)
	v_cvt_f32_f64_e32 v2, v[0:1]
	v_mov_b32_e32 v3, 0
	global_store_b64 v[4:5], v[2:3], off
.LBB6_111:
	s_mov_b32 s18, 0
.LBB6_112:
	s_delay_alu instid0(SALU_CYCLE_1)
	s_and_not1_b32 vcc_lo, exec_lo, s18
	s_cbranch_vccnz .LBB6_114
; %bb.113:
	s_wait_xcnt 0x0
	s_delay_alu instid0(VALU_DEP_4) | instskip(SKIP_2) | instid1(VALU_DEP_3)
	v_and_or_b32 v2, 0x1ff, v1, v0
	v_lshrrev_b32_e32 v3, 8, v1
	v_bfe_u32 v6, v1, 20, 11
	v_cmp_ne_u32_e32 vcc_lo, 0, v2
	s_delay_alu instid0(VALU_DEP_2) | instskip(SKIP_1) | instid1(VALU_DEP_1)
	v_sub_nc_u32_e32 v7, 0x3f1, v6
	v_cndmask_b32_e64 v2, 0, 1, vcc_lo
	v_and_or_b32 v2, 0xffe, v3, v2
	s_delay_alu instid0(VALU_DEP_3) | instskip(NEXT) | instid1(VALU_DEP_2)
	v_med3_i32 v3, v7, 0, 13
	v_or_b32_e32 v7, 0x1000, v2
	s_delay_alu instid0(VALU_DEP_1) | instskip(NEXT) | instid1(VALU_DEP_1)
	v_lshrrev_b32_e32 v8, v3, v7
	v_lshlrev_b32_e32 v3, v3, v8
	s_delay_alu instid0(VALU_DEP_1) | instskip(SKIP_1) | instid1(VALU_DEP_1)
	v_cmp_ne_u32_e32 vcc_lo, v3, v7
	v_cndmask_b32_e64 v3, 0, 1, vcc_lo
	v_or_b32_e32 v3, v8, v3
	v_add_nc_u32_e32 v6, 0xfffffc10, v6
	s_delay_alu instid0(VALU_DEP_1) | instskip(SKIP_1) | instid1(VALU_DEP_2)
	v_lshl_or_b32 v7, v6, 12, v2
	v_cmp_gt_i32_e32 vcc_lo, 1, v6
	v_cndmask_b32_e32 v3, v7, v3, vcc_lo
	s_delay_alu instid0(VALU_DEP_1) | instskip(NEXT) | instid1(VALU_DEP_1)
	v_dual_lshrrev_b32 v3, 2, v3 :: v_dual_bitop2_b32 v7, 7, v3 bitop3:0x40
	v_cmp_lt_i32_e32 vcc_lo, 5, v7
	v_cndmask_b32_e64 v8, 0, 1, vcc_lo
	v_cmp_eq_u32_e32 vcc_lo, 3, v7
	v_cndmask_b32_e64 v7, 0, 1, vcc_lo
	v_cmp_ne_u32_e32 vcc_lo, 0, v2
	s_delay_alu instid0(VALU_DEP_2) | instskip(NEXT) | instid1(VALU_DEP_1)
	v_or_b32_e32 v7, v7, v8
	v_dual_mov_b32 v8, 0x7e00 :: v_dual_add_nc_u32 v3, v3, v7
	s_delay_alu instid0(VALU_DEP_1) | instskip(SKIP_2) | instid1(VALU_DEP_4)
	v_cndmask_b32_e32 v2, 0x7c00, v8, vcc_lo
	v_cmp_gt_i32_e32 vcc_lo, 31, v6
	v_lshrrev_b32_e32 v7, 16, v1
	v_cndmask_b32_e32 v3, 0x7c00, v3, vcc_lo
	v_cmp_eq_u32_e32 vcc_lo, 0x40f, v6
	s_delay_alu instid0(VALU_DEP_2) | instskip(NEXT) | instid1(VALU_DEP_4)
	v_cndmask_b32_e32 v2, v3, v2, vcc_lo
	v_and_b32_e32 v3, 0x8000, v7
	s_delay_alu instid0(VALU_DEP_1)
	v_bitop3_b32 v2, v3, 0xffff, v2 bitop3:0xc8
	global_store_b32 v[4:5], v2, off
.LBB6_114:
	s_mov_b32 s18, 0
.LBB6_115:
	s_delay_alu instid0(SALU_CYCLE_1)
	s_and_not1_b32 vcc_lo, exec_lo, s18
	s_cbranch_vccnz .LBB6_124
; %bb.116:
	s_cmp_lt_i32 s13, 6
	s_mov_b32 s18, -1
	s_cbranch_scc1 .LBB6_122
; %bb.117:
	s_cmp_gt_i32 s13, 6
	s_cbranch_scc0 .LBB6_119
; %bb.118:
	s_mov_b32 s18, 0
	global_store_b64 v[4:5], v[0:1], off
.LBB6_119:
	s_and_not1_b32 vcc_lo, exec_lo, s18
	s_cbranch_vccnz .LBB6_121
; %bb.120:
	s_wait_xcnt 0x0
	s_delay_alu instid0(VALU_DEP_4)
	v_cvt_f32_f64_e32 v2, v[0:1]
	global_store_b32 v[4:5], v2, off
.LBB6_121:
	s_mov_b32 s18, 0
.LBB6_122:
	s_delay_alu instid0(SALU_CYCLE_1)
	s_and_not1_b32 vcc_lo, exec_lo, s18
	s_cbranch_vccnz .LBB6_124
; %bb.123:
	s_wait_xcnt 0x0
	s_delay_alu instid0(VALU_DEP_4) | instskip(SKIP_2) | instid1(VALU_DEP_3)
	v_and_or_b32 v2, 0x1ff, v1, v0
	v_lshrrev_b32_e32 v3, 8, v1
	v_bfe_u32 v6, v1, 20, 11
	v_cmp_ne_u32_e32 vcc_lo, 0, v2
	s_delay_alu instid0(VALU_DEP_2) | instskip(SKIP_1) | instid1(VALU_DEP_1)
	v_sub_nc_u32_e32 v7, 0x3f1, v6
	v_cndmask_b32_e64 v2, 0, 1, vcc_lo
	v_and_or_b32 v2, 0xffe, v3, v2
	s_delay_alu instid0(VALU_DEP_3) | instskip(NEXT) | instid1(VALU_DEP_2)
	v_med3_i32 v3, v7, 0, 13
	v_or_b32_e32 v7, 0x1000, v2
	s_delay_alu instid0(VALU_DEP_1) | instskip(NEXT) | instid1(VALU_DEP_1)
	v_lshrrev_b32_e32 v8, v3, v7
	v_lshlrev_b32_e32 v3, v3, v8
	s_delay_alu instid0(VALU_DEP_1) | instskip(SKIP_1) | instid1(VALU_DEP_1)
	v_cmp_ne_u32_e32 vcc_lo, v3, v7
	v_cndmask_b32_e64 v3, 0, 1, vcc_lo
	v_or_b32_e32 v3, v8, v3
	v_add_nc_u32_e32 v6, 0xfffffc10, v6
	s_delay_alu instid0(VALU_DEP_1) | instskip(SKIP_1) | instid1(VALU_DEP_2)
	v_lshl_or_b32 v7, v6, 12, v2
	v_cmp_gt_i32_e32 vcc_lo, 1, v6
	v_cndmask_b32_e32 v3, v7, v3, vcc_lo
	s_delay_alu instid0(VALU_DEP_1) | instskip(NEXT) | instid1(VALU_DEP_1)
	v_dual_lshrrev_b32 v3, 2, v3 :: v_dual_bitop2_b32 v7, 7, v3 bitop3:0x40
	v_cmp_lt_i32_e32 vcc_lo, 5, v7
	v_cndmask_b32_e64 v8, 0, 1, vcc_lo
	v_cmp_eq_u32_e32 vcc_lo, 3, v7
	v_cndmask_b32_e64 v7, 0, 1, vcc_lo
	v_cmp_ne_u32_e32 vcc_lo, 0, v2
	s_delay_alu instid0(VALU_DEP_2) | instskip(NEXT) | instid1(VALU_DEP_1)
	v_or_b32_e32 v7, v7, v8
	v_dual_mov_b32 v8, 0x7e00 :: v_dual_add_nc_u32 v3, v3, v7
	s_delay_alu instid0(VALU_DEP_1) | instskip(SKIP_1) | instid1(VALU_DEP_3)
	v_cndmask_b32_e32 v2, 0x7c00, v8, vcc_lo
	v_cmp_gt_i32_e32 vcc_lo, 31, v6
	v_cndmask_b32_e32 v3, 0x7c00, v3, vcc_lo
	v_cmp_eq_u32_e32 vcc_lo, 0x40f, v6
	s_delay_alu instid0(VALU_DEP_2) | instskip(NEXT) | instid1(VALU_DEP_1)
	v_dual_cndmask_b32 v2, v3, v2 :: v_dual_lshrrev_b32 v3, 16, v1
	v_and_or_b32 v2, 0x8000, v3, v2
	global_store_b16 v[4:5], v2, off
.LBB6_124:
	s_mov_b32 s18, 0
.LBB6_125:
	s_delay_alu instid0(SALU_CYCLE_1)
	s_and_not1_b32 vcc_lo, exec_lo, s18
	s_cbranch_vccnz .LBB6_141
; %bb.126:
	s_cmp_lt_i32 s13, 2
	s_mov_b32 s18, -1
	s_cbranch_scc1 .LBB6_136
; %bb.127:
	s_cmp_lt_i32 s13, 3
	s_cbranch_scc1 .LBB6_133
; %bb.128:
	s_cmp_gt_i32 s13, 3
	s_cbranch_scc0 .LBB6_130
; %bb.129:
	s_wait_xcnt 0x0
	s_delay_alu instid0(VALU_DEP_4) | instskip(SKIP_1) | instid1(VALU_DEP_1)
	v_trunc_f64_e32 v[2:3], v[0:1]
	s_mov_b32 s18, 0
	v_ldexp_f64 v[6:7], v[2:3], 0xffffffe0
	s_delay_alu instid0(VALU_DEP_1) | instskip(NEXT) | instid1(VALU_DEP_1)
	v_floor_f64_e32 v[6:7], v[6:7]
	v_fmamk_f64 v[2:3], v[6:7], 0xc1f00000, v[2:3]
	v_cvt_i32_f64_e32 v7, v[6:7]
	s_delay_alu instid0(VALU_DEP_2)
	v_cvt_u32_f64_e32 v6, v[2:3]
	global_store_b64 v[4:5], v[6:7], off
.LBB6_130:
	s_and_not1_b32 vcc_lo, exec_lo, s18
	s_cbranch_vccnz .LBB6_132
; %bb.131:
	s_wait_xcnt 0x0
	s_delay_alu instid0(VALU_DEP_4)
	v_cvt_i32_f64_e32 v2, v[0:1]
	global_store_b32 v[4:5], v2, off
.LBB6_132:
	s_mov_b32 s18, 0
.LBB6_133:
	s_delay_alu instid0(SALU_CYCLE_1)
	s_and_not1_b32 vcc_lo, exec_lo, s18
	s_cbranch_vccnz .LBB6_135
; %bb.134:
	s_wait_xcnt 0x0
	s_delay_alu instid0(VALU_DEP_4)
	v_cvt_i32_f64_e32 v2, v[0:1]
	global_store_b16 v[4:5], v2, off
.LBB6_135:
	s_mov_b32 s18, 0
.LBB6_136:
	s_delay_alu instid0(SALU_CYCLE_1)
	s_and_not1_b32 vcc_lo, exec_lo, s18
	s_cbranch_vccnz .LBB6_141
; %bb.137:
	s_cmp_gt_i32 s13, 0
	s_mov_b32 s13, -1
	s_cbranch_scc0 .LBB6_139
; %bb.138:
	s_wait_xcnt 0x0
	s_delay_alu instid0(VALU_DEP_4)
	v_cvt_i32_f64_e32 v2, v[0:1]
	s_mov_b32 s13, 0
	global_store_b8 v[4:5], v2, off
.LBB6_139:
	s_and_not1_b32 vcc_lo, exec_lo, s13
	s_cbranch_vccnz .LBB6_141
; %bb.140:
	s_wait_xcnt 0x0
	s_delay_alu instid0(VALU_DEP_4) | instskip(NEXT) | instid1(VALU_DEP_1)
	v_trunc_f64_e32 v[0:1], v[0:1]
	v_ldexp_f64 v[2:3], v[0:1], 0xffffffe0
	s_delay_alu instid0(VALU_DEP_1) | instskip(NEXT) | instid1(VALU_DEP_1)
	v_floor_f64_e32 v[2:3], v[2:3]
	v_fmamk_f64 v[0:1], v[2:3], 0xc1f00000, v[0:1]
	s_delay_alu instid0(VALU_DEP_1)
	v_cvt_u32_f64_e32 v0, v[0:1]
	global_store_b8 v[4:5], v0, off
.LBB6_141:
.LBB6_142:
	v_add_nc_u32_e32 v10, 0x80, v10
	s_mov_b32 s18, -1
	s_branch .LBB6_253
.LBB6_143:
	s_mov_b32 s15, -1
                                        ; implicit-def: $vgpr2_vgpr3
.LBB6_144:
	s_mov_b32 s18, 0
.LBB6_145:
	s_delay_alu instid0(SALU_CYCLE_1)
	s_and_b32 vcc_lo, exec_lo, s18
	s_cbranch_vccz .LBB6_149
; %bb.146:
	s_cmp_eq_u32 s0, 29
	s_cbranch_scc0 .LBB6_148
; %bb.147:
	global_load_b64 v[2:3], v[0:1], off
	s_mov_b32 s13, -1
	s_mov_b32 s15, 0
	s_mov_b32 s18, 0
	s_wait_loadcnt 0x0
	v_cvt_f64_u32_e32 v[4:5], v3
	v_cvt_f64_u32_e32 v[2:3], v2
	s_delay_alu instid0(VALU_DEP_2) | instskip(NEXT) | instid1(VALU_DEP_1)
	v_ldexp_f64 v[4:5], v[4:5], 32
	v_add_f64_e32 v[2:3], v[4:5], v[2:3]
	s_branch .LBB6_150
.LBB6_148:
	s_mov_b32 s15, -1
                                        ; implicit-def: $vgpr2_vgpr3
.LBB6_149:
	s_mov_b32 s18, 0
.LBB6_150:
	s_delay_alu instid0(SALU_CYCLE_1)
	s_and_b32 vcc_lo, exec_lo, s18
	s_cbranch_vccz .LBB6_168
; %bb.151:
	s_cmp_lt_i32 s0, 27
	s_cbranch_scc1 .LBB6_154
; %bb.152:
	s_cmp_gt_i32 s0, 27
	s_cbranch_scc0 .LBB6_155
; %bb.153:
	global_load_b32 v2, v[0:1], off
	s_mov_b32 s13, 0
	s_wait_loadcnt 0x0
	v_cvt_f64_u32_e32 v[2:3], v2
	s_branch .LBB6_156
.LBB6_154:
	s_mov_b32 s13, -1
                                        ; implicit-def: $vgpr2_vgpr3
	s_branch .LBB6_159
.LBB6_155:
	s_mov_b32 s13, -1
                                        ; implicit-def: $vgpr2_vgpr3
.LBB6_156:
	s_delay_alu instid0(SALU_CYCLE_1)
	s_and_not1_b32 vcc_lo, exec_lo, s13
	s_cbranch_vccnz .LBB6_158
; %bb.157:
	global_load_u16 v2, v[0:1], off
	s_wait_loadcnt 0x0
	v_cvt_f64_u32_e32 v[2:3], v2
.LBB6_158:
	s_mov_b32 s13, 0
.LBB6_159:
	s_delay_alu instid0(SALU_CYCLE_1)
	s_and_not1_b32 vcc_lo, exec_lo, s13
	s_cbranch_vccnz .LBB6_167
; %bb.160:
	global_load_u8 v4, v[0:1], off
	s_mov_b32 s13, 0
	s_mov_b32 s18, exec_lo
	s_wait_loadcnt 0x0
	v_cmpx_lt_i16_e32 0x7f, v4
	s_xor_b32 s18, exec_lo, s18
	s_cbranch_execz .LBB6_180
; %bb.161:
	s_mov_b32 s13, -1
	s_mov_b32 s19, exec_lo
	v_cmpx_eq_u16_e32 0x80, v4
; %bb.162:
	s_xor_b32 s13, exec_lo, -1
; %bb.163:
	s_or_b32 exec_lo, exec_lo, s19
	s_delay_alu instid0(SALU_CYCLE_1)
	s_and_b32 s13, s13, exec_lo
	s_or_saveexec_b32 s18, s18
	v_mov_b64_e32 v[2:3], 0x7ff8000020000000
	s_xor_b32 exec_lo, exec_lo, s18
	s_cbranch_execnz .LBB6_181
.LBB6_164:
	s_or_b32 exec_lo, exec_lo, s18
	s_and_saveexec_b32 s18, s13
	s_cbranch_execz .LBB6_166
.LBB6_165:
	v_and_b32_e32 v2, 0xffff, v4
	s_delay_alu instid0(VALU_DEP_1) | instskip(SKIP_1) | instid1(VALU_DEP_2)
	v_and_b32_e32 v3, 7, v2
	v_bfe_u32 v7, v2, 3, 4
	v_clz_i32_u32_e32 v5, v3
	s_delay_alu instid0(VALU_DEP_2) | instskip(NEXT) | instid1(VALU_DEP_2)
	v_cmp_eq_u32_e32 vcc_lo, 0, v7
	v_min_u32_e32 v5, 32, v5
	s_delay_alu instid0(VALU_DEP_1) | instskip(NEXT) | instid1(VALU_DEP_1)
	v_subrev_nc_u32_e32 v6, 28, v5
	v_dual_lshlrev_b32 v2, v6, v2 :: v_dual_sub_nc_u32 v5, 29, v5
	s_delay_alu instid0(VALU_DEP_1) | instskip(NEXT) | instid1(VALU_DEP_2)
	v_dual_lshlrev_b32 v4, 24, v4 :: v_dual_bitop2_b32 v2, 7, v2 bitop3:0x40
	v_cndmask_b32_e32 v5, v7, v5, vcc_lo
	s_delay_alu instid0(VALU_DEP_2) | instskip(NEXT) | instid1(VALU_DEP_3)
	v_cndmask_b32_e32 v2, v3, v2, vcc_lo
	v_and_b32_e32 v3, 0x80000000, v4
	s_delay_alu instid0(VALU_DEP_3) | instskip(NEXT) | instid1(VALU_DEP_3)
	v_lshl_add_u32 v4, v5, 23, 0x3b800000
	v_lshlrev_b32_e32 v2, 20, v2
	s_delay_alu instid0(VALU_DEP_1) | instskip(NEXT) | instid1(VALU_DEP_1)
	v_or3_b32 v2, v3, v4, v2
	v_cvt_f64_f32_e32 v[2:3], v2
.LBB6_166:
	s_or_b32 exec_lo, exec_lo, s18
.LBB6_167:
	s_mov_b32 s13, -1
.LBB6_168:
	s_branch .LBB6_203
.LBB6_169:
	s_cmp_gt_i32 s0, 22
	s_cbranch_scc0 .LBB6_179
; %bb.170:
	s_cmp_lt_i32 s0, 24
	s_cbranch_scc1 .LBB6_182
; %bb.171:
	s_cmp_gt_i32 s0, 24
	s_cbranch_scc0 .LBB6_183
; %bb.172:
	global_load_u8 v4, v[0:1], off
	s_mov_b32 s13, 0
	s_mov_b32 s18, exec_lo
	s_wait_loadcnt 0x0
	v_cmpx_lt_i16_e32 0x7f, v4
	s_xor_b32 s18, exec_lo, s18
	s_cbranch_execz .LBB6_195
; %bb.173:
	s_mov_b32 s13, -1
	s_mov_b32 s19, exec_lo
	v_cmpx_eq_u16_e32 0x80, v4
; %bb.174:
	s_xor_b32 s13, exec_lo, -1
; %bb.175:
	s_or_b32 exec_lo, exec_lo, s19
	s_delay_alu instid0(SALU_CYCLE_1)
	s_and_b32 s13, s13, exec_lo
	s_or_saveexec_b32 s18, s18
	v_mov_b64_e32 v[2:3], 0x7ff8000020000000
	s_xor_b32 exec_lo, exec_lo, s18
	s_cbranch_execnz .LBB6_196
.LBB6_176:
	s_or_b32 exec_lo, exec_lo, s18
	s_and_saveexec_b32 s18, s13
	s_cbranch_execz .LBB6_178
.LBB6_177:
	v_and_b32_e32 v2, 0xffff, v4
	s_delay_alu instid0(VALU_DEP_1) | instskip(SKIP_1) | instid1(VALU_DEP_2)
	v_and_b32_e32 v3, 3, v2
	v_bfe_u32 v7, v2, 2, 5
	v_clz_i32_u32_e32 v5, v3
	s_delay_alu instid0(VALU_DEP_2) | instskip(NEXT) | instid1(VALU_DEP_2)
	v_cmp_eq_u32_e32 vcc_lo, 0, v7
	v_min_u32_e32 v5, 32, v5
	s_delay_alu instid0(VALU_DEP_1) | instskip(NEXT) | instid1(VALU_DEP_1)
	v_subrev_nc_u32_e32 v6, 29, v5
	v_dual_lshlrev_b32 v2, v6, v2 :: v_dual_sub_nc_u32 v5, 30, v5
	s_delay_alu instid0(VALU_DEP_1) | instskip(NEXT) | instid1(VALU_DEP_2)
	v_dual_lshlrev_b32 v4, 24, v4 :: v_dual_bitop2_b32 v2, 3, v2 bitop3:0x40
	v_cndmask_b32_e32 v5, v7, v5, vcc_lo
	s_delay_alu instid0(VALU_DEP_2) | instskip(NEXT) | instid1(VALU_DEP_3)
	v_cndmask_b32_e32 v2, v3, v2, vcc_lo
	v_and_b32_e32 v3, 0x80000000, v4
	s_delay_alu instid0(VALU_DEP_3) | instskip(NEXT) | instid1(VALU_DEP_3)
	v_lshl_add_u32 v4, v5, 23, 0x37800000
	v_lshlrev_b32_e32 v2, 21, v2
	s_delay_alu instid0(VALU_DEP_1) | instskip(NEXT) | instid1(VALU_DEP_1)
	v_or3_b32 v2, v3, v4, v2
	v_cvt_f64_f32_e32 v[2:3], v2
.LBB6_178:
	s_or_b32 exec_lo, exec_lo, s18
	s_mov_b32 s13, 0
	s_branch .LBB6_184
.LBB6_179:
	s_mov_b32 s18, -1
                                        ; implicit-def: $vgpr2_vgpr3
	s_branch .LBB6_190
.LBB6_180:
	s_or_saveexec_b32 s18, s18
	v_mov_b64_e32 v[2:3], 0x7ff8000020000000
	s_xor_b32 exec_lo, exec_lo, s18
	s_cbranch_execz .LBB6_164
.LBB6_181:
	v_cmp_ne_u16_e32 vcc_lo, 0, v4
	v_mov_b64_e32 v[2:3], 0
	s_and_not1_b32 s13, s13, exec_lo
	s_and_b32 s19, vcc_lo, exec_lo
	s_delay_alu instid0(SALU_CYCLE_1)
	s_or_b32 s13, s13, s19
	s_or_b32 exec_lo, exec_lo, s18
	s_and_saveexec_b32 s18, s13
	s_cbranch_execnz .LBB6_165
	s_branch .LBB6_166
.LBB6_182:
	s_mov_b32 s13, -1
                                        ; implicit-def: $vgpr2_vgpr3
	s_branch .LBB6_187
.LBB6_183:
	s_mov_b32 s13, -1
                                        ; implicit-def: $vgpr2_vgpr3
.LBB6_184:
	s_delay_alu instid0(SALU_CYCLE_1)
	s_and_b32 vcc_lo, exec_lo, s13
	s_cbranch_vccz .LBB6_186
; %bb.185:
	global_load_u8 v2, v[0:1], off
	s_wait_loadcnt 0x0
	v_lshlrev_b32_e32 v2, 24, v2
	s_delay_alu instid0(VALU_DEP_1) | instskip(NEXT) | instid1(VALU_DEP_1)
	v_and_b32_e32 v3, 0x7f000000, v2
	v_clz_i32_u32_e32 v4, v3
	v_cmp_ne_u32_e32 vcc_lo, 0, v3
	v_add_nc_u32_e32 v6, 0x1000000, v3
	s_delay_alu instid0(VALU_DEP_3) | instskip(NEXT) | instid1(VALU_DEP_1)
	v_min_u32_e32 v4, 32, v4
	v_sub_nc_u32_e64 v4, v4, 4 clamp
	s_delay_alu instid0(VALU_DEP_1) | instskip(NEXT) | instid1(VALU_DEP_1)
	v_dual_lshlrev_b32 v5, v4, v3 :: v_dual_lshlrev_b32 v4, 23, v4
	v_lshrrev_b32_e32 v5, 4, v5
	s_delay_alu instid0(VALU_DEP_1) | instskip(NEXT) | instid1(VALU_DEP_1)
	v_dual_sub_nc_u32 v4, v5, v4 :: v_dual_ashrrev_i32 v5, 8, v6
	v_add_nc_u32_e32 v4, 0x3c000000, v4
	s_delay_alu instid0(VALU_DEP_1) | instskip(NEXT) | instid1(VALU_DEP_1)
	v_and_or_b32 v4, 0x7f800000, v5, v4
	v_cndmask_b32_e32 v3, 0, v4, vcc_lo
	s_delay_alu instid0(VALU_DEP_1) | instskip(NEXT) | instid1(VALU_DEP_1)
	v_and_or_b32 v2, 0x80000000, v2, v3
	v_cvt_f64_f32_e32 v[2:3], v2
.LBB6_186:
	s_mov_b32 s13, 0
.LBB6_187:
	s_delay_alu instid0(SALU_CYCLE_1)
	s_and_not1_b32 vcc_lo, exec_lo, s13
	s_cbranch_vccnz .LBB6_189
; %bb.188:
	global_load_u8 v2, v[0:1], off
	s_wait_loadcnt 0x0
	v_lshlrev_b32_e32 v3, 25, v2
	v_lshlrev_b16 v2, 8, v2
	s_delay_alu instid0(VALU_DEP_1) | instskip(SKIP_1) | instid1(VALU_DEP_2)
	v_and_or_b32 v5, 0x7f00, v2, 0.5
	v_bfe_i32 v2, v2, 0, 16
	v_dual_add_f32 v5, -0.5, v5 :: v_dual_lshrrev_b32 v4, 4, v3
	v_cmp_gt_u32_e32 vcc_lo, 0x8000000, v3
	s_delay_alu instid0(VALU_DEP_2) | instskip(NEXT) | instid1(VALU_DEP_1)
	v_or_b32_e32 v4, 0x70000000, v4
	v_mul_f32_e32 v4, 0x7800000, v4
	s_delay_alu instid0(VALU_DEP_1) | instskip(NEXT) | instid1(VALU_DEP_1)
	v_cndmask_b32_e32 v3, v4, v5, vcc_lo
	v_and_or_b32 v2, 0x80000000, v2, v3
	s_delay_alu instid0(VALU_DEP_1)
	v_cvt_f64_f32_e32 v[2:3], v2
.LBB6_189:
	s_mov_b32 s18, 0
	s_mov_b32 s13, -1
.LBB6_190:
	s_and_not1_b32 vcc_lo, exec_lo, s18
	s_cbranch_vccnz .LBB6_203
; %bb.191:
	s_cmp_gt_i32 s0, 14
	s_cbranch_scc0 .LBB6_194
; %bb.192:
	s_cmp_eq_u32 s0, 15
	s_cbranch_scc0 .LBB6_197
; %bb.193:
	global_load_u16 v2, v[0:1], off
	s_mov_b32 s13, -1
	s_mov_b32 s15, 0
	s_wait_loadcnt 0x0
	v_lshlrev_b32_e32 v2, 16, v2
	s_delay_alu instid0(VALU_DEP_1)
	v_cvt_f64_f32_e32 v[2:3], v2
	s_branch .LBB6_198
.LBB6_194:
	s_mov_b32 s18, -1
                                        ; implicit-def: $vgpr2_vgpr3
	s_branch .LBB6_199
.LBB6_195:
	s_or_saveexec_b32 s18, s18
	v_mov_b64_e32 v[2:3], 0x7ff8000020000000
	s_xor_b32 exec_lo, exec_lo, s18
	s_cbranch_execz .LBB6_176
.LBB6_196:
	v_cmp_ne_u16_e32 vcc_lo, 0, v4
	v_mov_b64_e32 v[2:3], 0
	s_and_not1_b32 s13, s13, exec_lo
	s_and_b32 s19, vcc_lo, exec_lo
	s_delay_alu instid0(SALU_CYCLE_1)
	s_or_b32 s13, s13, s19
	s_or_b32 exec_lo, exec_lo, s18
	s_and_saveexec_b32 s18, s13
	s_cbranch_execnz .LBB6_177
	s_branch .LBB6_178
.LBB6_197:
	s_mov_b32 s15, -1
                                        ; implicit-def: $vgpr2_vgpr3
.LBB6_198:
	s_mov_b32 s18, 0
.LBB6_199:
	s_delay_alu instid0(SALU_CYCLE_1)
	s_and_b32 vcc_lo, exec_lo, s18
	s_cbranch_vccz .LBB6_203
; %bb.200:
	s_cmp_eq_u32 s0, 11
	s_cbranch_scc0 .LBB6_202
; %bb.201:
	global_load_u8 v2, v[0:1], off
	s_mov_b32 s15, 0
	s_mov_b32 s13, -1
	s_wait_loadcnt 0x0
	v_cmp_ne_u16_e32 vcc_lo, 0, v2
	v_mov_b32_e32 v2, 0
	v_cndmask_b32_e64 v3, 0, 0x3ff00000, vcc_lo
	s_branch .LBB6_203
.LBB6_202:
	s_mov_b32 s15, -1
                                        ; implicit-def: $vgpr2_vgpr3
.LBB6_203:
	s_branch .LBB6_10
.LBB6_204:
	s_cmp_lt_i32 s0, 5
	s_cbranch_scc1 .LBB6_209
; %bb.205:
	s_cmp_lt_i32 s0, 8
	s_cbranch_scc1 .LBB6_210
; %bb.206:
	;; [unrolled: 3-line block ×3, first 2 shown]
	s_cmp_gt_i32 s0, 9
	s_cbranch_scc0 .LBB6_212
; %bb.208:
	global_load_b64 v[2:3], v[0:1], off
	s_mov_b32 s13, 0
	s_branch .LBB6_213
.LBB6_209:
                                        ; implicit-def: $vgpr2_vgpr3
	s_branch .LBB6_231
.LBB6_210:
	s_mov_b32 s13, -1
                                        ; implicit-def: $vgpr2_vgpr3
	s_branch .LBB6_219
.LBB6_211:
	s_mov_b32 s13, -1
                                        ; implicit-def: $vgpr2_vgpr3
	s_branch .LBB6_216
.LBB6_212:
	s_mov_b32 s13, -1
                                        ; implicit-def: $vgpr2_vgpr3
.LBB6_213:
	s_delay_alu instid0(SALU_CYCLE_1)
	s_and_not1_b32 vcc_lo, exec_lo, s13
	s_cbranch_vccnz .LBB6_215
; %bb.214:
	s_wait_loadcnt 0x0
	global_load_b32 v2, v[0:1], off
	s_wait_loadcnt 0x0
	v_cvt_f64_f32_e32 v[2:3], v2
.LBB6_215:
	s_mov_b32 s13, 0
.LBB6_216:
	s_delay_alu instid0(SALU_CYCLE_1)
	s_and_not1_b32 vcc_lo, exec_lo, s13
	s_cbranch_vccnz .LBB6_218
; %bb.217:
	s_wait_loadcnt 0x0
	global_load_b32 v2, v[0:1], off
	s_wait_loadcnt 0x0
	v_cvt_f32_f16_e32 v2, v2
	s_delay_alu instid0(VALU_DEP_1)
	v_cvt_f64_f32_e32 v[2:3], v2
.LBB6_218:
	s_mov_b32 s13, 0
.LBB6_219:
	s_delay_alu instid0(SALU_CYCLE_1)
	s_and_not1_b32 vcc_lo, exec_lo, s13
	s_cbranch_vccnz .LBB6_230
; %bb.220:
	s_cmp_lt_i32 s0, 6
	s_cbranch_scc1 .LBB6_223
; %bb.221:
	s_cmp_gt_i32 s0, 6
	s_cbranch_scc0 .LBB6_224
; %bb.222:
	s_wait_loadcnt 0x0
	global_load_b64 v[2:3], v[0:1], off
	s_mov_b32 s13, 0
	s_branch .LBB6_225
.LBB6_223:
	s_mov_b32 s13, -1
                                        ; implicit-def: $vgpr2_vgpr3
	s_branch .LBB6_228
.LBB6_224:
	s_mov_b32 s13, -1
                                        ; implicit-def: $vgpr2_vgpr3
.LBB6_225:
	s_delay_alu instid0(SALU_CYCLE_1)
	s_and_not1_b32 vcc_lo, exec_lo, s13
	s_cbranch_vccnz .LBB6_227
; %bb.226:
	s_wait_loadcnt 0x0
	global_load_b32 v2, v[0:1], off
	s_wait_loadcnt 0x0
	v_cvt_f64_f32_e32 v[2:3], v2
.LBB6_227:
	s_mov_b32 s13, 0
.LBB6_228:
	s_delay_alu instid0(SALU_CYCLE_1)
	s_and_not1_b32 vcc_lo, exec_lo, s13
	s_cbranch_vccnz .LBB6_230
; %bb.229:
	s_wait_loadcnt 0x0
	global_load_u16 v2, v[0:1], off
	s_wait_loadcnt 0x0
	v_cvt_f32_f16_e32 v2, v2
	s_delay_alu instid0(VALU_DEP_1)
	v_cvt_f64_f32_e32 v[2:3], v2
.LBB6_230:
	s_cbranch_execnz .LBB6_250
.LBB6_231:
	s_cmp_lt_i32 s0, 2
	s_cbranch_scc1 .LBB6_235
; %bb.232:
	s_cmp_lt_i32 s0, 3
	s_cbranch_scc1 .LBB6_236
; %bb.233:
	s_cmp_gt_i32 s0, 3
	s_cbranch_scc0 .LBB6_237
; %bb.234:
	s_wait_loadcnt 0x0
	global_load_b64 v[2:3], v[0:1], off
	s_mov_b32 s13, 0
	s_wait_loadcnt 0x0
	v_cvt_f64_i32_e32 v[4:5], v3
	v_cvt_f64_u32_e32 v[2:3], v2
	s_delay_alu instid0(VALU_DEP_2) | instskip(NEXT) | instid1(VALU_DEP_1)
	v_ldexp_f64 v[4:5], v[4:5], 32
	v_add_f64_e32 v[2:3], v[4:5], v[2:3]
	s_branch .LBB6_238
.LBB6_235:
	s_mov_b32 s13, -1
                                        ; implicit-def: $vgpr2_vgpr3
	s_branch .LBB6_244
.LBB6_236:
	s_mov_b32 s13, -1
                                        ; implicit-def: $vgpr2_vgpr3
	s_branch .LBB6_241
.LBB6_237:
	s_mov_b32 s13, -1
                                        ; implicit-def: $vgpr2_vgpr3
.LBB6_238:
	s_delay_alu instid0(SALU_CYCLE_1)
	s_and_not1_b32 vcc_lo, exec_lo, s13
	s_cbranch_vccnz .LBB6_240
; %bb.239:
	s_wait_loadcnt 0x0
	global_load_b32 v2, v[0:1], off
	s_wait_loadcnt 0x0
	v_cvt_f64_i32_e32 v[2:3], v2
.LBB6_240:
	s_mov_b32 s13, 0
.LBB6_241:
	s_delay_alu instid0(SALU_CYCLE_1)
	s_and_not1_b32 vcc_lo, exec_lo, s13
	s_cbranch_vccnz .LBB6_243
; %bb.242:
	s_wait_loadcnt 0x0
	global_load_i16 v2, v[0:1], off
	s_wait_loadcnt 0x0
	v_cvt_f64_i32_e32 v[2:3], v2
.LBB6_243:
	s_mov_b32 s13, 0
.LBB6_244:
	s_delay_alu instid0(SALU_CYCLE_1)
	s_and_not1_b32 vcc_lo, exec_lo, s13
	s_cbranch_vccnz .LBB6_250
; %bb.245:
	s_cmp_gt_i32 s0, 0
	s_mov_b32 s0, 0
	s_cbranch_scc0 .LBB6_247
; %bb.246:
	s_wait_loadcnt 0x0
	global_load_i8 v2, v[0:1], off
	s_wait_loadcnt 0x0
	v_cvt_f64_i32_e32 v[2:3], v2
	s_branch .LBB6_248
.LBB6_247:
	s_mov_b32 s0, -1
                                        ; implicit-def: $vgpr2_vgpr3
.LBB6_248:
	s_delay_alu instid0(SALU_CYCLE_1)
	s_and_not1_b32 vcc_lo, exec_lo, s0
	s_cbranch_vccnz .LBB6_250
; %bb.249:
	global_load_u8 v0, v[0:1], off
	s_wait_loadcnt 0x0
	v_cvt_f64_u32_e32 v[2:3], v0
.LBB6_250:
	s_branch .LBB6_11
.LBB6_251:
	s_mov_b32 s0, 0
.LBB6_252:
	s_mov_b32 s18, 0
                                        ; implicit-def: $vgpr10
.LBB6_253:
	s_and_b32 s13, s0, exec_lo
	s_and_b32 s15, s15, exec_lo
	s_or_not1_b32 s19, s18, exec_lo
.LBB6_254:
	s_wait_xcnt 0x0
	s_or_b32 exec_lo, exec_lo, s16
	s_mov_b32 s18, 0
	s_mov_b32 s0, 0
                                        ; implicit-def: $vgpr0_vgpr1
                                        ; implicit-def: $vgpr2_vgpr3
	s_and_saveexec_b32 s16, s19
	s_cbranch_execz .LBB6_263
; %bb.255:
	s_mov_b32 s0, -1
	s_mov_b32 s17, s15
	s_mov_b32 s18, s13
	s_mov_b32 s19, exec_lo
	v_cmpx_gt_i32_e64 s14, v10
	s_cbranch_execz .LBB6_519
; %bb.256:
	v_mul_lo_u32 v0, v10, s9
	s_and_b32 s0, 0xffff, s3
	s_delay_alu instid0(SALU_CYCLE_1) | instskip(NEXT) | instid1(VALU_DEP_1)
	s_cmp_lt_i32 s0, 11
	v_ashrrev_i32_e32 v1, 31, v0
	s_delay_alu instid0(VALU_DEP_1)
	v_add_nc_u64_e32 v[0:1], s[6:7], v[0:1]
	s_cbranch_scc1 .LBB6_266
; %bb.257:
	s_cmp_gt_i32 s0, 25
	s_cbranch_scc0 .LBB6_277
; %bb.258:
	s_cmp_gt_i32 s0, 28
	s_cbranch_scc0 .LBB6_279
	;; [unrolled: 3-line block ×4, first 2 shown]
; %bb.261:
	s_cmp_eq_u32 s0, 46
	s_mov_b32 s20, 0
	s_cbranch_scc0 .LBB6_289
; %bb.262:
	s_wait_loadcnt 0x0
	global_load_b32 v2, v[0:1], off
	s_mov_b32 s18, -1
	s_mov_b32 s17, 0
	s_wait_loadcnt 0x0
	v_lshlrev_b32_e32 v2, 16, v2
	s_delay_alu instid0(VALU_DEP_1)
	v_cvt_f64_f32_e32 v[2:3], v2
	s_branch .LBB6_291
.LBB6_263:
	s_or_b32 exec_lo, exec_lo, s16
	s_mov_b32 s14, 0
	s_and_saveexec_b32 s16, s15
	s_cbranch_execnz .LBB6_869
.LBB6_264:
	s_or_b32 exec_lo, exec_lo, s16
	s_and_saveexec_b32 s15, s17
	s_delay_alu instid0(SALU_CYCLE_1)
	s_xor_b32 s15, exec_lo, s15
	s_cbranch_execz .LBB6_870
.LBB6_265:
	s_wait_loadcnt 0x0
	global_load_u8 v2, v[0:1], off
	s_or_b32 s0, s0, exec_lo
	s_wait_loadcnt 0x0
	v_cmp_ne_u16_e32 vcc_lo, 0, v2
	v_mov_b32_e32 v2, 0
	v_cndmask_b32_e64 v3, 0, 0x3ff00000, vcc_lo
	s_wait_xcnt 0x0
	s_or_b32 exec_lo, exec_lo, s15
	s_and_saveexec_b32 s15, s18
	s_cbranch_execz .LBB6_916
	s_branch .LBB6_871
.LBB6_266:
	s_mov_b32 s18, 0
	s_mov_b32 s17, s15
                                        ; implicit-def: $vgpr2_vgpr3
	s_cbranch_execnz .LBB6_468
.LBB6_267:
	s_and_not1_b32 vcc_lo, exec_lo, s18
	s_cbranch_vccnz .LBB6_516
.LBB6_268:
	s_wait_xcnt 0x0
	v_mov_b64_e32 v[0:1], 1.0
	s_mov_b32 s0, exec_lo
	s_wait_loadcnt 0x0
	s_delay_alu instid0(VALU_DEP_2)
	v_cmpx_lt_f64_e32 s[10:11], v[2:3]
	s_cbranch_execz .LBB6_270
; %bb.269:
	v_add_f64_e32 v[0:1], 0x3e7ad7f29abcaf48, v[2:3]
	s_delay_alu instid0(VALU_DEP_1) | instskip(NEXT) | instid1(VALU_DEP_1)
	v_div_scale_f64 v[2:3], null, v[0:1], v[0:1], s[10:11]
	v_rcp_f64_e32 v[4:5], v[2:3]
	v_nop
	s_delay_alu instid0(TRANS32_DEP_1) | instskip(NEXT) | instid1(VALU_DEP_1)
	v_fma_f64 v[6:7], -v[2:3], v[4:5], 1.0
	v_fmac_f64_e32 v[4:5], v[4:5], v[6:7]
	s_delay_alu instid0(VALU_DEP_1) | instskip(NEXT) | instid1(VALU_DEP_1)
	v_fma_f64 v[6:7], -v[2:3], v[4:5], 1.0
	v_fmac_f64_e32 v[4:5], v[4:5], v[6:7]
	v_div_scale_f64 v[6:7], vcc_lo, s[10:11], v[0:1], s[10:11]
	s_delay_alu instid0(VALU_DEP_1) | instskip(NEXT) | instid1(VALU_DEP_1)
	v_mul_f64_e32 v[8:9], v[6:7], v[4:5]
	v_fma_f64 v[2:3], -v[2:3], v[8:9], v[6:7]
	s_delay_alu instid0(VALU_DEP_1) | instskip(NEXT) | instid1(VALU_DEP_1)
	v_div_fmas_f64 v[2:3], v[2:3], v[4:5], v[8:9]
	v_div_fixup_f64 v[0:1], v[2:3], v[0:1], s[10:11]
.LBB6_270:
	s_or_b32 exec_lo, exec_lo, s0
	v_mul_lo_u32 v2, v10, s8
	s_and_b32 s18, s2, 0xff
	s_delay_alu instid0(SALU_CYCLE_1) | instskip(NEXT) | instid1(VALU_DEP_1)
	s_cmp_lt_i32 s18, 11
	v_ashrrev_i32_e32 v3, 31, v2
	s_delay_alu instid0(VALU_DEP_1)
	v_add_nc_u64_e32 v[4:5], s[4:5], v[2:3]
	s_cbranch_scc1 .LBB6_278
; %bb.271:
	s_and_b32 s20, 0xffff, s18
	s_delay_alu instid0(SALU_CYCLE_1)
	s_cmp_gt_i32 s20, 25
	s_cbranch_scc0 .LBB6_280
; %bb.272:
	s_cmp_gt_i32 s20, 28
	s_cbranch_scc0 .LBB6_282
; %bb.273:
	;; [unrolled: 3-line block ×4, first 2 shown]
	s_mov_b32 s22, 0
	s_mov_b32 s0, -1
	s_cmp_eq_u32 s20, 46
	s_mov_b32 s21, 0
	s_cbranch_scc0 .LBB6_295
; %bb.276:
	s_delay_alu instid0(VALU_DEP_4) | instskip(SKIP_2) | instid1(VALU_DEP_1)
	v_cvt_f32_f64_e32 v2, v[0:1]
	s_mov_b32 s21, -1
	s_mov_b32 s0, 0
	v_bfe_u32 v3, v2, 16, 1
	v_cmp_o_f32_e32 vcc_lo, v2, v2
	s_delay_alu instid0(VALU_DEP_2) | instskip(NEXT) | instid1(VALU_DEP_1)
	v_add3_u32 v3, v2, v3, 0x7fff
	v_lshrrev_b32_e32 v3, 16, v3
	s_delay_alu instid0(VALU_DEP_1)
	v_cndmask_b32_e32 v2, 0x7fc0, v3, vcc_lo
	global_store_b32 v[4:5], v2, off
	s_branch .LBB6_295
.LBB6_277:
	s_mov_b32 s20, -1
	s_mov_b32 s18, 0
	s_mov_b32 s17, s15
                                        ; implicit-def: $vgpr2_vgpr3
	s_branch .LBB6_432
.LBB6_278:
	s_mov_b32 s20, -1
	s_mov_b32 s21, 0
	s_mov_b32 s0, s13
	s_branch .LBB6_364
.LBB6_279:
	s_mov_b32 s20, -1
	s_mov_b32 s18, 0
	s_mov_b32 s17, s15
                                        ; implicit-def: $vgpr2_vgpr3
	s_branch .LBB6_413
.LBB6_280:
	s_mov_b32 s22, -1
	s_mov_b32 s21, 0
	s_mov_b32 s0, s13
	s_branch .LBB6_322
.LBB6_281:
	s_mov_b32 s20, -1
	s_mov_b32 s18, 0
	s_mov_b32 s17, s15
                                        ; implicit-def: $vgpr2_vgpr3
	s_branch .LBB6_408
.LBB6_282:
	s_mov_b32 s22, -1
	s_mov_b32 s21, 0
	s_mov_b32 s0, s13
	s_branch .LBB6_305
.LBB6_283:
	s_and_not1_saveexec_b32 s21, s21
	s_cbranch_execz .LBB6_56
.LBB6_284:
	v_add_f32_e64 v3, 0x46000000, |v2|
	s_and_not1_b32 s20, s20, exec_lo
	s_delay_alu instid0(VALU_DEP_1) | instskip(NEXT) | instid1(VALU_DEP_1)
	v_and_b32_e32 v3, 0xff, v3
	v_cmp_ne_u32_e32 vcc_lo, 0, v3
	s_and_b32 s22, vcc_lo, exec_lo
	s_delay_alu instid0(SALU_CYCLE_1)
	s_or_b32 s20, s20, s22
	s_or_b32 exec_lo, exec_lo, s21
	v_mov_b32_e32 v6, 0
	s_and_saveexec_b32 s21, s20
	s_cbranch_execnz .LBB6_57
	s_branch .LBB6_58
.LBB6_285:
	s_mov_b32 s20, -1
	s_mov_b32 s18, 0
	s_mov_b32 s17, s15
	s_branch .LBB6_290
.LBB6_286:
	s_mov_b32 s22, -1
	s_mov_b32 s21, 0
	s_mov_b32 s0, s13
	s_branch .LBB6_301
.LBB6_287:
	s_and_not1_saveexec_b32 s21, s21
	s_cbranch_execz .LBB6_69
.LBB6_288:
	v_add_f32_e64 v3, 0x42800000, |v2|
	s_and_not1_b32 s20, s20, exec_lo
	s_delay_alu instid0(VALU_DEP_1) | instskip(NEXT) | instid1(VALU_DEP_1)
	v_and_b32_e32 v3, 0xff, v3
	v_cmp_ne_u32_e32 vcc_lo, 0, v3
	s_and_b32 s22, vcc_lo, exec_lo
	s_delay_alu instid0(SALU_CYCLE_1)
	s_or_b32 s20, s20, s22
	s_or_b32 exec_lo, exec_lo, s21
	v_mov_b32_e32 v6, 0
	s_and_saveexec_b32 s21, s20
	s_cbranch_execnz .LBB6_70
	s_branch .LBB6_71
.LBB6_289:
	s_mov_b32 s17, -1
	s_mov_b32 s18, 0
.LBB6_290:
                                        ; implicit-def: $vgpr2_vgpr3
.LBB6_291:
	s_and_b32 vcc_lo, exec_lo, s20
	s_cbranch_vccz .LBB6_407
; %bb.292:
	s_cmp_eq_u32 s0, 44
	s_cbranch_scc0 .LBB6_406
; %bb.293:
	global_load_u8 v4, v[0:1], off
	s_mov_b32 s17, 0
	s_mov_b32 s18, -1
	s_wait_loadcnt 0x0
	v_cmp_ne_u32_e32 vcc_lo, 0xff, v4
	v_lshlrev_b32_e32 v2, 23, v4
	s_delay_alu instid0(VALU_DEP_1) | instskip(NEXT) | instid1(VALU_DEP_1)
	v_cvt_f64_f32_e32 v[2:3], v2
	v_cndmask_b32_e32 v2, 0x20000000, v2, vcc_lo
	s_delay_alu instid0(VALU_DEP_2) | instskip(SKIP_1) | instid1(VALU_DEP_2)
	v_cndmask_b32_e32 v3, 0x7ff80000, v3, vcc_lo
	v_cmp_ne_u32_e32 vcc_lo, 0, v4
	v_cndmask_b32_e32 v3, 0x38000000, v3, vcc_lo
	s_delay_alu instid0(VALU_DEP_4)
	v_cndmask_b32_e32 v2, 0, v2, vcc_lo
	s_branch .LBB6_407
.LBB6_294:
	s_mov_b32 s22, -1
	s_mov_b32 s21, 0
	s_mov_b32 s0, s13
.LBB6_295:
	s_and_b32 vcc_lo, exec_lo, s22
	s_cbranch_vccz .LBB6_300
; %bb.296:
	s_cmp_eq_u32 s20, 44
	s_mov_b32 s0, -1
	s_cbranch_scc0 .LBB6_300
; %bb.297:
	s_wait_xcnt 0x0
	s_delay_alu instid0(VALU_DEP_4) | instskip(SKIP_2) | instid1(VALU_DEP_2)
	v_cvt_f32_f64_e32 v2, v[0:1]
	v_mov_b32_e32 v3, 0xff
	s_mov_b32 s21, exec_lo
	v_bfe_u32 v6, v2, 23, 8
	s_delay_alu instid0(VALU_DEP_1)
	v_cmpx_ne_u32_e32 0xff, v6
	s_cbranch_execz .LBB6_299
; %bb.298:
	v_and_b32_e32 v3, 0x400000, v2
	v_and_or_b32 v6, 0x3fffff, v2, v6
	v_lshrrev_b32_e32 v2, 23, v2
	s_delay_alu instid0(VALU_DEP_3) | instskip(NEXT) | instid1(VALU_DEP_3)
	v_cmp_ne_u32_e32 vcc_lo, 0, v3
	v_cmp_ne_u32_e64 s0, 0, v6
	s_and_b32 s0, vcc_lo, s0
	s_delay_alu instid0(SALU_CYCLE_1) | instskip(NEXT) | instid1(VALU_DEP_1)
	v_cndmask_b32_e64 v3, 0, 1, s0
	v_add_nc_u32_e32 v3, v2, v3
.LBB6_299:
	s_or_b32 exec_lo, exec_lo, s21
	s_mov_b32 s21, -1
	s_mov_b32 s0, 0
	global_store_b8 v[4:5], v3, off
.LBB6_300:
	s_mov_b32 s22, 0
.LBB6_301:
	s_delay_alu instid0(SALU_CYCLE_1)
	s_and_b32 vcc_lo, exec_lo, s22
	s_cbranch_vccz .LBB6_304
; %bb.302:
	s_cmp_eq_u32 s20, 29
	s_mov_b32 s0, -1
	s_cbranch_scc0 .LBB6_304
; %bb.303:
	s_wait_xcnt 0x0
	s_delay_alu instid0(VALU_DEP_4) | instskip(SKIP_3) | instid1(VALU_DEP_1)
	v_trunc_f64_e32 v[2:3], v[0:1]
	s_mov_b32 s21, -1
	s_mov_b32 s0, 0
	s_mov_b32 s22, 0
	v_ldexp_f64 v[6:7], v[2:3], 0xffffffe0
	s_delay_alu instid0(VALU_DEP_1) | instskip(NEXT) | instid1(VALU_DEP_1)
	v_floor_f64_e32 v[6:7], v[6:7]
	v_fmamk_f64 v[2:3], v[6:7], 0xc1f00000, v[2:3]
	v_cvt_u32_f64_e32 v7, v[6:7]
	s_delay_alu instid0(VALU_DEP_2)
	v_cvt_u32_f64_e32 v6, v[2:3]
	global_store_b64 v[4:5], v[6:7], off
	s_branch .LBB6_305
.LBB6_304:
	s_mov_b32 s22, 0
.LBB6_305:
	s_delay_alu instid0(SALU_CYCLE_1)
	s_and_b32 vcc_lo, exec_lo, s22
	s_cbranch_vccz .LBB6_321
; %bb.306:
	s_cmp_lt_i32 s20, 27
	s_mov_b32 s21, -1
	s_cbranch_scc1 .LBB6_312
; %bb.307:
	s_wait_xcnt 0x0
	s_delay_alu instid0(VALU_DEP_4)
	v_cvt_u32_f64_e32 v2, v[0:1]
	s_cmp_gt_i32 s20, 27
	s_cbranch_scc0 .LBB6_309
; %bb.308:
	s_mov_b32 s21, 0
	global_store_b32 v[4:5], v2, off
.LBB6_309:
	s_and_not1_b32 vcc_lo, exec_lo, s21
	s_cbranch_vccnz .LBB6_311
; %bb.310:
	global_store_b16 v[4:5], v2, off
.LBB6_311:
	s_mov_b32 s21, 0
.LBB6_312:
	s_delay_alu instid0(SALU_CYCLE_1)
	s_and_not1_b32 vcc_lo, exec_lo, s21
	s_cbranch_vccnz .LBB6_320
; %bb.313:
	s_wait_xcnt 0x0
	s_delay_alu instid0(VALU_DEP_4) | instskip(SKIP_2) | instid1(VALU_DEP_2)
	v_cvt_f32_f64_e32 v2, v[0:1]
	v_mov_b32_e32 v6, 0x80
	s_mov_b32 s21, exec_lo
	v_and_b32_e32 v3, 0x7fffffff, v2
	s_delay_alu instid0(VALU_DEP_1)
	v_cmpx_gt_u32_e32 0x43800000, v3
	s_cbranch_execz .LBB6_319
; %bb.314:
	v_cmp_lt_u32_e32 vcc_lo, 0x3bffffff, v3
	s_mov_b32 s22, 0
                                        ; implicit-def: $vgpr3
	s_and_saveexec_b32 s23, vcc_lo
	s_delay_alu instid0(SALU_CYCLE_1)
	s_xor_b32 s23, exec_lo, s23
	s_cbranch_execz .LBB6_532
; %bb.315:
	v_bfe_u32 v3, v2, 20, 1
	s_mov_b32 s22, exec_lo
	s_delay_alu instid0(VALU_DEP_1) | instskip(NEXT) | instid1(VALU_DEP_1)
	v_add3_u32 v3, v2, v3, 0x487ffff
	v_lshrrev_b32_e32 v3, 20, v3
	s_and_not1_saveexec_b32 s23, s23
	s_cbranch_execnz .LBB6_533
.LBB6_316:
	s_or_b32 exec_lo, exec_lo, s23
	v_mov_b32_e32 v6, 0
	s_and_saveexec_b32 s23, s22
.LBB6_317:
	v_lshrrev_b32_e32 v2, 24, v2
	s_delay_alu instid0(VALU_DEP_1)
	v_and_or_b32 v6, 0x80, v2, v3
.LBB6_318:
	s_or_b32 exec_lo, exec_lo, s23
.LBB6_319:
	s_delay_alu instid0(SALU_CYCLE_1)
	s_or_b32 exec_lo, exec_lo, s21
	global_store_b8 v[4:5], v6, off
.LBB6_320:
	s_mov_b32 s21, -1
.LBB6_321:
	s_mov_b32 s22, 0
.LBB6_322:
	s_delay_alu instid0(SALU_CYCLE_1)
	s_and_b32 vcc_lo, exec_lo, s22
	s_cbranch_vccz .LBB6_363
; %bb.323:
	s_cmp_gt_i32 s20, 22
	s_mov_b32 s22, -1
	s_cbranch_scc0 .LBB6_355
; %bb.324:
	s_cmp_lt_i32 s20, 24
	s_mov_b32 s21, -1
	s_cbranch_scc1 .LBB6_344
; %bb.325:
	s_cmp_gt_i32 s20, 24
	s_cbranch_scc0 .LBB6_333
; %bb.326:
	s_wait_xcnt 0x0
	s_delay_alu instid0(VALU_DEP_4) | instskip(SKIP_2) | instid1(VALU_DEP_2)
	v_cvt_f32_f64_e32 v2, v[0:1]
	v_mov_b32_e32 v6, 0x80
	s_mov_b32 s21, exec_lo
	v_and_b32_e32 v3, 0x7fffffff, v2
	s_delay_alu instid0(VALU_DEP_1)
	v_cmpx_gt_u32_e32 0x47800000, v3
	s_cbranch_execz .LBB6_332
; %bb.327:
	v_cmp_lt_u32_e32 vcc_lo, 0x37ffffff, v3
	s_mov_b32 s22, 0
                                        ; implicit-def: $vgpr3
	s_and_saveexec_b32 s23, vcc_lo
	s_delay_alu instid0(SALU_CYCLE_1)
	s_xor_b32 s23, exec_lo, s23
	s_cbranch_execz .LBB6_535
; %bb.328:
	v_bfe_u32 v3, v2, 21, 1
	s_mov_b32 s22, exec_lo
	s_delay_alu instid0(VALU_DEP_1) | instskip(NEXT) | instid1(VALU_DEP_1)
	v_add3_u32 v3, v2, v3, 0x88fffff
	v_lshrrev_b32_e32 v3, 21, v3
	s_and_not1_saveexec_b32 s23, s23
	s_cbranch_execnz .LBB6_536
.LBB6_329:
	s_or_b32 exec_lo, exec_lo, s23
	v_mov_b32_e32 v6, 0
	s_and_saveexec_b32 s23, s22
.LBB6_330:
	v_lshrrev_b32_e32 v2, 24, v2
	s_delay_alu instid0(VALU_DEP_1)
	v_and_or_b32 v6, 0x80, v2, v3
.LBB6_331:
	s_or_b32 exec_lo, exec_lo, s23
.LBB6_332:
	s_delay_alu instid0(SALU_CYCLE_1)
	s_or_b32 exec_lo, exec_lo, s21
	s_mov_b32 s21, 0
	global_store_b8 v[4:5], v6, off
.LBB6_333:
	s_and_b32 vcc_lo, exec_lo, s21
	s_cbranch_vccz .LBB6_343
; %bb.334:
	s_wait_xcnt 0x0
	s_delay_alu instid0(VALU_DEP_4) | instskip(SKIP_1) | instid1(VALU_DEP_1)
	v_cvt_f32_f64_e32 v2, v[0:1]
	s_mov_b32 s21, exec_lo
                                        ; implicit-def: $vgpr3
	v_and_b32_e32 v6, 0x7fffffff, v2
	s_delay_alu instid0(VALU_DEP_1)
	v_cmpx_gt_u32_e32 0x43f00000, v6
	s_xor_b32 s21, exec_lo, s21
	s_cbranch_execz .LBB6_340
; %bb.335:
	s_mov_b32 s22, exec_lo
                                        ; implicit-def: $vgpr3
	v_cmpx_lt_u32_e32 0x3c7fffff, v6
	s_xor_b32 s22, exec_lo, s22
; %bb.336:
	v_bfe_u32 v3, v2, 20, 1
	s_delay_alu instid0(VALU_DEP_1) | instskip(NEXT) | instid1(VALU_DEP_1)
	v_add3_u32 v3, v2, v3, 0x407ffff
	v_and_b32_e32 v6, 0xff00000, v3
	v_lshrrev_b32_e32 v3, 20, v3
	s_delay_alu instid0(VALU_DEP_2) | instskip(NEXT) | instid1(VALU_DEP_2)
	v_cmp_ne_u32_e32 vcc_lo, 0x7f00000, v6
	v_cndmask_b32_e32 v3, 0x7e, v3, vcc_lo
; %bb.337:
	s_and_not1_saveexec_b32 s22, s22
; %bb.338:
	v_add_f32_e64 v3, 0x46800000, |v2|
; %bb.339:
	s_or_b32 exec_lo, exec_lo, s22
                                        ; implicit-def: $vgpr6
.LBB6_340:
	s_and_not1_saveexec_b32 s21, s21
; %bb.341:
	v_mov_b32_e32 v3, 0x7f
	v_cmp_lt_u32_e32 vcc_lo, 0x7f800000, v6
	s_delay_alu instid0(VALU_DEP_2)
	v_cndmask_b32_e32 v3, 0x7e, v3, vcc_lo
; %bb.342:
	s_or_b32 exec_lo, exec_lo, s21
	v_lshrrev_b32_e32 v2, 24, v2
	s_delay_alu instid0(VALU_DEP_1)
	v_and_or_b32 v2, 0x80, v2, v3
	global_store_b8 v[4:5], v2, off
.LBB6_343:
	s_mov_b32 s21, 0
.LBB6_344:
	s_delay_alu instid0(SALU_CYCLE_1)
	s_and_not1_b32 vcc_lo, exec_lo, s21
	s_cbranch_vccnz .LBB6_354
; %bb.345:
	s_wait_xcnt 0x0
	s_delay_alu instid0(VALU_DEP_4) | instskip(SKIP_1) | instid1(VALU_DEP_1)
	v_cvt_f32_f64_e32 v2, v[0:1]
	s_mov_b32 s21, exec_lo
                                        ; implicit-def: $vgpr3
	v_and_b32_e32 v6, 0x7fffffff, v2
	s_delay_alu instid0(VALU_DEP_1)
	v_cmpx_gt_u32_e32 0x47800000, v6
	s_xor_b32 s21, exec_lo, s21
	s_cbranch_execz .LBB6_351
; %bb.346:
	s_mov_b32 s22, exec_lo
                                        ; implicit-def: $vgpr3
	v_cmpx_lt_u32_e32 0x387fffff, v6
	s_xor_b32 s22, exec_lo, s22
; %bb.347:
	v_bfe_u32 v3, v2, 21, 1
	s_delay_alu instid0(VALU_DEP_1) | instskip(NEXT) | instid1(VALU_DEP_1)
	v_add3_u32 v3, v2, v3, 0x80fffff
	v_lshrrev_b32_e32 v3, 21, v3
; %bb.348:
	s_and_not1_saveexec_b32 s22, s22
; %bb.349:
	v_add_f32_e64 v3, 0x43000000, |v2|
; %bb.350:
	s_or_b32 exec_lo, exec_lo, s22
                                        ; implicit-def: $vgpr6
.LBB6_351:
	s_and_not1_saveexec_b32 s21, s21
; %bb.352:
	v_mov_b32_e32 v3, 0x7f
	v_cmp_lt_u32_e32 vcc_lo, 0x7f800000, v6
	s_delay_alu instid0(VALU_DEP_2)
	v_cndmask_b32_e32 v3, 0x7c, v3, vcc_lo
; %bb.353:
	s_or_b32 exec_lo, exec_lo, s21
	v_lshrrev_b32_e32 v2, 24, v2
	s_delay_alu instid0(VALU_DEP_1)
	v_and_or_b32 v2, 0x80, v2, v3
	global_store_b8 v[4:5], v2, off
.LBB6_354:
	s_mov_b32 s22, 0
	s_mov_b32 s21, -1
.LBB6_355:
	s_and_not1_b32 vcc_lo, exec_lo, s22
	s_cbranch_vccnz .LBB6_363
; %bb.356:
	s_cmp_gt_i32 s20, 14
	s_mov_b32 s22, -1
	s_cbranch_scc0 .LBB6_360
; %bb.357:
	s_cmp_eq_u32 s20, 15
	s_mov_b32 s0, -1
	s_cbranch_scc0 .LBB6_359
; %bb.358:
	s_wait_xcnt 0x0
	s_delay_alu instid0(VALU_DEP_4) | instskip(SKIP_2) | instid1(VALU_DEP_1)
	v_cvt_f32_f64_e32 v2, v[0:1]
	s_mov_b32 s21, -1
	s_mov_b32 s0, 0
	v_bfe_u32 v3, v2, 16, 1
	v_cmp_o_f32_e32 vcc_lo, v2, v2
	s_delay_alu instid0(VALU_DEP_2) | instskip(NEXT) | instid1(VALU_DEP_1)
	v_add3_u32 v3, v2, v3, 0x7fff
	v_lshrrev_b32_e32 v3, 16, v3
	s_delay_alu instid0(VALU_DEP_1)
	v_cndmask_b32_e32 v2, 0x7fc0, v3, vcc_lo
	global_store_b16 v[4:5], v2, off
.LBB6_359:
	s_mov_b32 s22, 0
.LBB6_360:
	s_delay_alu instid0(SALU_CYCLE_1)
	s_and_b32 vcc_lo, exec_lo, s22
	s_cbranch_vccz .LBB6_363
; %bb.361:
	s_cmp_eq_u32 s20, 11
	s_mov_b32 s0, -1
	s_cbranch_scc0 .LBB6_363
; %bb.362:
	s_delay_alu instid0(VALU_DEP_4)
	v_cmp_neq_f64_e32 vcc_lo, 0, v[0:1]
	s_mov_b32 s21, -1
	s_mov_b32 s0, 0
	s_wait_xcnt 0x0
	v_cndmask_b32_e64 v2, 0, 1, vcc_lo
	global_store_b8 v[4:5], v2, off
.LBB6_363:
	s_mov_b32 s20, 0
.LBB6_364:
	s_delay_alu instid0(SALU_CYCLE_1)
	s_and_b32 vcc_lo, exec_lo, s20
	s_cbranch_vccz .LBB6_403
; %bb.365:
	s_and_b32 s18, 0xffff, s18
	s_mov_b32 s20, -1
	s_cmp_lt_i32 s18, 5
	s_cbranch_scc1 .LBB6_386
; %bb.366:
	s_cmp_lt_i32 s18, 8
	s_cbranch_scc1 .LBB6_376
; %bb.367:
	;; [unrolled: 3-line block ×3, first 2 shown]
	s_cmp_gt_i32 s18, 9
	s_cbranch_scc0 .LBB6_370
; %bb.369:
	s_wait_xcnt 0x0
	v_mov_b32_e32 v2, 0
	s_mov_b32 s20, 0
	s_delay_alu instid0(VALU_DEP_1)
	v_mov_b32_e32 v3, v2
	global_store_b128 v[4:5], v[0:3], off
.LBB6_370:
	s_and_not1_b32 vcc_lo, exec_lo, s20
	s_cbranch_vccnz .LBB6_372
; %bb.371:
	s_wait_xcnt 0x0
	s_delay_alu instid0(VALU_DEP_4)
	v_cvt_f32_f64_e32 v2, v[0:1]
	v_mov_b32_e32 v3, 0
	global_store_b64 v[4:5], v[2:3], off
.LBB6_372:
	s_mov_b32 s20, 0
.LBB6_373:
	s_delay_alu instid0(SALU_CYCLE_1)
	s_and_not1_b32 vcc_lo, exec_lo, s20
	s_cbranch_vccnz .LBB6_375
; %bb.374:
	s_wait_xcnt 0x0
	s_delay_alu instid0(VALU_DEP_4) | instskip(SKIP_2) | instid1(VALU_DEP_3)
	v_and_or_b32 v2, 0x1ff, v1, v0
	v_lshrrev_b32_e32 v3, 8, v1
	v_bfe_u32 v6, v1, 20, 11
	v_cmp_ne_u32_e32 vcc_lo, 0, v2
	s_delay_alu instid0(VALU_DEP_2) | instskip(SKIP_1) | instid1(VALU_DEP_1)
	v_sub_nc_u32_e32 v7, 0x3f1, v6
	v_cndmask_b32_e64 v2, 0, 1, vcc_lo
	v_and_or_b32 v2, 0xffe, v3, v2
	s_delay_alu instid0(VALU_DEP_3) | instskip(NEXT) | instid1(VALU_DEP_2)
	v_med3_i32 v3, v7, 0, 13
	v_or_b32_e32 v7, 0x1000, v2
	s_delay_alu instid0(VALU_DEP_1) | instskip(NEXT) | instid1(VALU_DEP_1)
	v_lshrrev_b32_e32 v8, v3, v7
	v_lshlrev_b32_e32 v3, v3, v8
	s_delay_alu instid0(VALU_DEP_1) | instskip(SKIP_1) | instid1(VALU_DEP_1)
	v_cmp_ne_u32_e32 vcc_lo, v3, v7
	v_cndmask_b32_e64 v3, 0, 1, vcc_lo
	v_or_b32_e32 v3, v8, v3
	v_add_nc_u32_e32 v6, 0xfffffc10, v6
	s_delay_alu instid0(VALU_DEP_1) | instskip(SKIP_1) | instid1(VALU_DEP_2)
	v_lshl_or_b32 v7, v6, 12, v2
	v_cmp_gt_i32_e32 vcc_lo, 1, v6
	v_cndmask_b32_e32 v3, v7, v3, vcc_lo
	s_delay_alu instid0(VALU_DEP_1) | instskip(NEXT) | instid1(VALU_DEP_1)
	v_dual_lshrrev_b32 v3, 2, v3 :: v_dual_bitop2_b32 v7, 7, v3 bitop3:0x40
	v_cmp_lt_i32_e32 vcc_lo, 5, v7
	v_cndmask_b32_e64 v8, 0, 1, vcc_lo
	v_cmp_eq_u32_e32 vcc_lo, 3, v7
	v_cndmask_b32_e64 v7, 0, 1, vcc_lo
	v_cmp_ne_u32_e32 vcc_lo, 0, v2
	s_delay_alu instid0(VALU_DEP_2) | instskip(NEXT) | instid1(VALU_DEP_1)
	v_or_b32_e32 v7, v7, v8
	v_dual_mov_b32 v8, 0x7e00 :: v_dual_add_nc_u32 v3, v3, v7
	s_delay_alu instid0(VALU_DEP_1) | instskip(SKIP_2) | instid1(VALU_DEP_4)
	v_cndmask_b32_e32 v2, 0x7c00, v8, vcc_lo
	v_cmp_gt_i32_e32 vcc_lo, 31, v6
	v_lshrrev_b32_e32 v7, 16, v1
	v_cndmask_b32_e32 v3, 0x7c00, v3, vcc_lo
	v_cmp_eq_u32_e32 vcc_lo, 0x40f, v6
	s_delay_alu instid0(VALU_DEP_2) | instskip(NEXT) | instid1(VALU_DEP_4)
	v_cndmask_b32_e32 v2, v3, v2, vcc_lo
	v_and_b32_e32 v3, 0x8000, v7
	s_delay_alu instid0(VALU_DEP_1)
	v_bitop3_b32 v2, v3, 0xffff, v2 bitop3:0xc8
	global_store_b32 v[4:5], v2, off
.LBB6_375:
	s_mov_b32 s20, 0
.LBB6_376:
	s_delay_alu instid0(SALU_CYCLE_1)
	s_and_not1_b32 vcc_lo, exec_lo, s20
	s_cbranch_vccnz .LBB6_385
; %bb.377:
	s_cmp_lt_i32 s18, 6
	s_mov_b32 s20, -1
	s_cbranch_scc1 .LBB6_383
; %bb.378:
	s_cmp_gt_i32 s18, 6
	s_cbranch_scc0 .LBB6_380
; %bb.379:
	s_mov_b32 s20, 0
	global_store_b64 v[4:5], v[0:1], off
.LBB6_380:
	s_and_not1_b32 vcc_lo, exec_lo, s20
	s_cbranch_vccnz .LBB6_382
; %bb.381:
	s_wait_xcnt 0x0
	s_delay_alu instid0(VALU_DEP_4)
	v_cvt_f32_f64_e32 v2, v[0:1]
	global_store_b32 v[4:5], v2, off
.LBB6_382:
	s_mov_b32 s20, 0
.LBB6_383:
	s_delay_alu instid0(SALU_CYCLE_1)
	s_and_not1_b32 vcc_lo, exec_lo, s20
	s_cbranch_vccnz .LBB6_385
; %bb.384:
	s_wait_xcnt 0x0
	s_delay_alu instid0(VALU_DEP_4) | instskip(SKIP_2) | instid1(VALU_DEP_3)
	v_and_or_b32 v2, 0x1ff, v1, v0
	v_lshrrev_b32_e32 v3, 8, v1
	v_bfe_u32 v6, v1, 20, 11
	v_cmp_ne_u32_e32 vcc_lo, 0, v2
	s_delay_alu instid0(VALU_DEP_2) | instskip(SKIP_1) | instid1(VALU_DEP_1)
	v_sub_nc_u32_e32 v7, 0x3f1, v6
	v_cndmask_b32_e64 v2, 0, 1, vcc_lo
	v_and_or_b32 v2, 0xffe, v3, v2
	s_delay_alu instid0(VALU_DEP_3) | instskip(NEXT) | instid1(VALU_DEP_2)
	v_med3_i32 v3, v7, 0, 13
	v_or_b32_e32 v7, 0x1000, v2
	s_delay_alu instid0(VALU_DEP_1) | instskip(NEXT) | instid1(VALU_DEP_1)
	v_lshrrev_b32_e32 v8, v3, v7
	v_lshlrev_b32_e32 v3, v3, v8
	s_delay_alu instid0(VALU_DEP_1) | instskip(SKIP_1) | instid1(VALU_DEP_1)
	v_cmp_ne_u32_e32 vcc_lo, v3, v7
	v_cndmask_b32_e64 v3, 0, 1, vcc_lo
	v_or_b32_e32 v3, v8, v3
	v_add_nc_u32_e32 v6, 0xfffffc10, v6
	s_delay_alu instid0(VALU_DEP_1) | instskip(SKIP_1) | instid1(VALU_DEP_2)
	v_lshl_or_b32 v7, v6, 12, v2
	v_cmp_gt_i32_e32 vcc_lo, 1, v6
	v_cndmask_b32_e32 v3, v7, v3, vcc_lo
	s_delay_alu instid0(VALU_DEP_1) | instskip(NEXT) | instid1(VALU_DEP_1)
	v_dual_lshrrev_b32 v3, 2, v3 :: v_dual_bitop2_b32 v7, 7, v3 bitop3:0x40
	v_cmp_lt_i32_e32 vcc_lo, 5, v7
	v_cndmask_b32_e64 v8, 0, 1, vcc_lo
	v_cmp_eq_u32_e32 vcc_lo, 3, v7
	v_cndmask_b32_e64 v7, 0, 1, vcc_lo
	v_cmp_ne_u32_e32 vcc_lo, 0, v2
	s_delay_alu instid0(VALU_DEP_2) | instskip(NEXT) | instid1(VALU_DEP_1)
	v_or_b32_e32 v7, v7, v8
	v_dual_mov_b32 v8, 0x7e00 :: v_dual_add_nc_u32 v3, v3, v7
	s_delay_alu instid0(VALU_DEP_1) | instskip(SKIP_1) | instid1(VALU_DEP_3)
	v_cndmask_b32_e32 v2, 0x7c00, v8, vcc_lo
	v_cmp_gt_i32_e32 vcc_lo, 31, v6
	v_cndmask_b32_e32 v3, 0x7c00, v3, vcc_lo
	v_cmp_eq_u32_e32 vcc_lo, 0x40f, v6
	s_delay_alu instid0(VALU_DEP_2) | instskip(NEXT) | instid1(VALU_DEP_1)
	v_dual_cndmask_b32 v2, v3, v2 :: v_dual_lshrrev_b32 v3, 16, v1
	v_and_or_b32 v2, 0x8000, v3, v2
	global_store_b16 v[4:5], v2, off
.LBB6_385:
	s_mov_b32 s20, 0
.LBB6_386:
	s_delay_alu instid0(SALU_CYCLE_1)
	s_and_not1_b32 vcc_lo, exec_lo, s20
	s_cbranch_vccnz .LBB6_402
; %bb.387:
	s_cmp_lt_i32 s18, 2
	s_mov_b32 s20, -1
	s_cbranch_scc1 .LBB6_397
; %bb.388:
	s_cmp_lt_i32 s18, 3
	s_cbranch_scc1 .LBB6_394
; %bb.389:
	s_cmp_gt_i32 s18, 3
	s_cbranch_scc0 .LBB6_391
; %bb.390:
	s_wait_xcnt 0x0
	s_delay_alu instid0(VALU_DEP_4) | instskip(SKIP_1) | instid1(VALU_DEP_1)
	v_trunc_f64_e32 v[2:3], v[0:1]
	s_mov_b32 s20, 0
	v_ldexp_f64 v[6:7], v[2:3], 0xffffffe0
	s_delay_alu instid0(VALU_DEP_1) | instskip(NEXT) | instid1(VALU_DEP_1)
	v_floor_f64_e32 v[6:7], v[6:7]
	v_fmamk_f64 v[2:3], v[6:7], 0xc1f00000, v[2:3]
	v_cvt_i32_f64_e32 v7, v[6:7]
	s_delay_alu instid0(VALU_DEP_2)
	v_cvt_u32_f64_e32 v6, v[2:3]
	global_store_b64 v[4:5], v[6:7], off
.LBB6_391:
	s_and_not1_b32 vcc_lo, exec_lo, s20
	s_cbranch_vccnz .LBB6_393
; %bb.392:
	s_wait_xcnt 0x0
	s_delay_alu instid0(VALU_DEP_4)
	v_cvt_i32_f64_e32 v2, v[0:1]
	global_store_b32 v[4:5], v2, off
.LBB6_393:
	s_mov_b32 s20, 0
.LBB6_394:
	s_delay_alu instid0(SALU_CYCLE_1)
	s_and_not1_b32 vcc_lo, exec_lo, s20
	s_cbranch_vccnz .LBB6_396
; %bb.395:
	s_wait_xcnt 0x0
	s_delay_alu instid0(VALU_DEP_4)
	v_cvt_i32_f64_e32 v2, v[0:1]
	global_store_b16 v[4:5], v2, off
.LBB6_396:
	s_mov_b32 s20, 0
.LBB6_397:
	s_delay_alu instid0(SALU_CYCLE_1)
	s_and_not1_b32 vcc_lo, exec_lo, s20
	s_cbranch_vccnz .LBB6_402
; %bb.398:
	s_cmp_gt_i32 s18, 0
	s_mov_b32 s18, -1
	s_cbranch_scc0 .LBB6_400
; %bb.399:
	s_wait_xcnt 0x0
	s_delay_alu instid0(VALU_DEP_4)
	v_cvt_i32_f64_e32 v2, v[0:1]
	s_mov_b32 s18, 0
	global_store_b8 v[4:5], v2, off
.LBB6_400:
	s_and_not1_b32 vcc_lo, exec_lo, s18
	s_cbranch_vccnz .LBB6_402
; %bb.401:
	s_wait_xcnt 0x0
	s_delay_alu instid0(VALU_DEP_4) | instskip(NEXT) | instid1(VALU_DEP_1)
	v_trunc_f64_e32 v[0:1], v[0:1]
	v_ldexp_f64 v[2:3], v[0:1], 0xffffffe0
	s_delay_alu instid0(VALU_DEP_1) | instskip(NEXT) | instid1(VALU_DEP_1)
	v_floor_f64_e32 v[2:3], v[2:3]
	v_fmamk_f64 v[0:1], v[2:3], 0xc1f00000, v[0:1]
	s_delay_alu instid0(VALU_DEP_1)
	v_cvt_u32_f64_e32 v0, v[0:1]
	global_store_b8 v[4:5], v0, off
.LBB6_402:
	s_mov_b32 s21, -1
.LBB6_403:
	s_delay_alu instid0(SALU_CYCLE_1)
	s_and_not1_b32 vcc_lo, exec_lo, s21
	s_cbranch_vccnz .LBB6_405
; %bb.404:
	v_add_nc_u32_e32 v10, 0x80, v10
	s_mov_b32 s20, -1
	s_branch .LBB6_518
.LBB6_405:
	s_mov_b32 s20, 0
	s_branch .LBB6_517
.LBB6_406:
	s_mov_b32 s17, -1
                                        ; implicit-def: $vgpr2_vgpr3
.LBB6_407:
	s_mov_b32 s20, 0
.LBB6_408:
	s_delay_alu instid0(SALU_CYCLE_1)
	s_and_b32 vcc_lo, exec_lo, s20
	s_cbranch_vccz .LBB6_412
; %bb.409:
	s_cmp_eq_u32 s0, 29
	s_cbranch_scc0 .LBB6_411
; %bb.410:
	s_wait_loadcnt 0x0
	global_load_b64 v[2:3], v[0:1], off
	s_mov_b32 s18, -1
	s_mov_b32 s17, 0
	s_mov_b32 s20, 0
	s_wait_loadcnt 0x0
	v_cvt_f64_u32_e32 v[4:5], v3
	v_cvt_f64_u32_e32 v[2:3], v2
	s_delay_alu instid0(VALU_DEP_2) | instskip(NEXT) | instid1(VALU_DEP_1)
	v_ldexp_f64 v[4:5], v[4:5], 32
	v_add_f64_e32 v[2:3], v[4:5], v[2:3]
	s_branch .LBB6_413
.LBB6_411:
	s_mov_b32 s17, -1
                                        ; implicit-def: $vgpr2_vgpr3
.LBB6_412:
	s_mov_b32 s20, 0
.LBB6_413:
	s_delay_alu instid0(SALU_CYCLE_1)
	s_and_b32 vcc_lo, exec_lo, s20
	s_cbranch_vccz .LBB6_431
; %bb.414:
	s_cmp_lt_i32 s0, 27
	s_cbranch_scc1 .LBB6_417
; %bb.415:
	s_cmp_gt_i32 s0, 27
	s_cbranch_scc0 .LBB6_418
; %bb.416:
	s_wait_loadcnt 0x0
	global_load_b32 v2, v[0:1], off
	s_mov_b32 s18, 0
	s_wait_loadcnt 0x0
	v_cvt_f64_u32_e32 v[2:3], v2
	s_branch .LBB6_419
.LBB6_417:
	s_mov_b32 s18, -1
                                        ; implicit-def: $vgpr2_vgpr3
	s_branch .LBB6_422
.LBB6_418:
	s_mov_b32 s18, -1
                                        ; implicit-def: $vgpr2_vgpr3
.LBB6_419:
	s_delay_alu instid0(SALU_CYCLE_1)
	s_and_not1_b32 vcc_lo, exec_lo, s18
	s_cbranch_vccnz .LBB6_421
; %bb.420:
	s_wait_loadcnt 0x0
	global_load_u16 v2, v[0:1], off
	s_wait_loadcnt 0x0
	v_cvt_f64_u32_e32 v[2:3], v2
.LBB6_421:
	s_mov_b32 s18, 0
.LBB6_422:
	s_delay_alu instid0(SALU_CYCLE_1)
	s_and_not1_b32 vcc_lo, exec_lo, s18
	s_cbranch_vccnz .LBB6_430
; %bb.423:
	global_load_u8 v4, v[0:1], off
	s_mov_b32 s18, 0
	s_mov_b32 s20, exec_lo
	s_wait_loadcnt 0x0
	v_cmpx_lt_i16_e32 0x7f, v4
	s_xor_b32 s20, exec_lo, s20
	s_cbranch_execz .LBB6_444
; %bb.424:
	s_mov_b32 s18, -1
	s_mov_b32 s21, exec_lo
	v_cmpx_eq_u16_e32 0x80, v4
; %bb.425:
	s_xor_b32 s18, exec_lo, -1
; %bb.426:
	s_or_b32 exec_lo, exec_lo, s21
	s_delay_alu instid0(SALU_CYCLE_1)
	s_and_b32 s18, s18, exec_lo
	s_or_saveexec_b32 s20, s20
	v_mov_b64_e32 v[2:3], 0x7ff8000020000000
	s_xor_b32 exec_lo, exec_lo, s20
	s_cbranch_execnz .LBB6_445
.LBB6_427:
	s_or_b32 exec_lo, exec_lo, s20
	s_and_saveexec_b32 s20, s18
	s_cbranch_execz .LBB6_429
.LBB6_428:
	v_and_b32_e32 v2, 0xffff, v4
	s_delay_alu instid0(VALU_DEP_1) | instskip(SKIP_1) | instid1(VALU_DEP_2)
	v_and_b32_e32 v3, 7, v2
	v_bfe_u32 v7, v2, 3, 4
	v_clz_i32_u32_e32 v5, v3
	s_delay_alu instid0(VALU_DEP_2) | instskip(NEXT) | instid1(VALU_DEP_2)
	v_cmp_eq_u32_e32 vcc_lo, 0, v7
	v_min_u32_e32 v5, 32, v5
	s_delay_alu instid0(VALU_DEP_1) | instskip(NEXT) | instid1(VALU_DEP_1)
	v_subrev_nc_u32_e32 v6, 28, v5
	v_dual_lshlrev_b32 v2, v6, v2 :: v_dual_sub_nc_u32 v5, 29, v5
	s_delay_alu instid0(VALU_DEP_1) | instskip(NEXT) | instid1(VALU_DEP_2)
	v_dual_lshlrev_b32 v4, 24, v4 :: v_dual_bitop2_b32 v2, 7, v2 bitop3:0x40
	v_cndmask_b32_e32 v5, v7, v5, vcc_lo
	s_delay_alu instid0(VALU_DEP_2) | instskip(NEXT) | instid1(VALU_DEP_3)
	v_cndmask_b32_e32 v2, v3, v2, vcc_lo
	v_and_b32_e32 v3, 0x80000000, v4
	s_delay_alu instid0(VALU_DEP_3) | instskip(NEXT) | instid1(VALU_DEP_3)
	v_lshl_add_u32 v4, v5, 23, 0x3b800000
	v_lshlrev_b32_e32 v2, 20, v2
	s_delay_alu instid0(VALU_DEP_1) | instskip(NEXT) | instid1(VALU_DEP_1)
	v_or3_b32 v2, v3, v4, v2
	v_cvt_f64_f32_e32 v[2:3], v2
.LBB6_429:
	s_or_b32 exec_lo, exec_lo, s20
.LBB6_430:
	s_mov_b32 s18, -1
.LBB6_431:
	s_mov_b32 s20, 0
.LBB6_432:
	s_delay_alu instid0(SALU_CYCLE_1)
	s_and_b32 vcc_lo, exec_lo, s20
	s_cbranch_vccz .LBB6_467
; %bb.433:
	s_cmp_gt_i32 s0, 22
	s_cbranch_scc0 .LBB6_443
; %bb.434:
	s_cmp_lt_i32 s0, 24
	s_cbranch_scc1 .LBB6_446
; %bb.435:
	s_cmp_gt_i32 s0, 24
	s_cbranch_scc0 .LBB6_447
; %bb.436:
	global_load_u8 v4, v[0:1], off
	s_mov_b32 s18, 0
	s_mov_b32 s20, exec_lo
	s_wait_loadcnt 0x0
	v_cmpx_lt_i16_e32 0x7f, v4
	s_xor_b32 s20, exec_lo, s20
	s_cbranch_execz .LBB6_459
; %bb.437:
	s_mov_b32 s18, -1
	s_mov_b32 s21, exec_lo
	v_cmpx_eq_u16_e32 0x80, v4
; %bb.438:
	s_xor_b32 s18, exec_lo, -1
; %bb.439:
	s_or_b32 exec_lo, exec_lo, s21
	s_delay_alu instid0(SALU_CYCLE_1)
	s_and_b32 s18, s18, exec_lo
	s_or_saveexec_b32 s20, s20
	v_mov_b64_e32 v[2:3], 0x7ff8000020000000
	s_xor_b32 exec_lo, exec_lo, s20
	s_cbranch_execnz .LBB6_460
.LBB6_440:
	s_or_b32 exec_lo, exec_lo, s20
	s_and_saveexec_b32 s20, s18
	s_cbranch_execz .LBB6_442
.LBB6_441:
	v_and_b32_e32 v2, 0xffff, v4
	s_delay_alu instid0(VALU_DEP_1) | instskip(SKIP_1) | instid1(VALU_DEP_2)
	v_and_b32_e32 v3, 3, v2
	v_bfe_u32 v7, v2, 2, 5
	v_clz_i32_u32_e32 v5, v3
	s_delay_alu instid0(VALU_DEP_2) | instskip(NEXT) | instid1(VALU_DEP_2)
	v_cmp_eq_u32_e32 vcc_lo, 0, v7
	v_min_u32_e32 v5, 32, v5
	s_delay_alu instid0(VALU_DEP_1) | instskip(NEXT) | instid1(VALU_DEP_1)
	v_subrev_nc_u32_e32 v6, 29, v5
	v_dual_lshlrev_b32 v2, v6, v2 :: v_dual_sub_nc_u32 v5, 30, v5
	s_delay_alu instid0(VALU_DEP_1) | instskip(NEXT) | instid1(VALU_DEP_2)
	v_dual_lshlrev_b32 v4, 24, v4 :: v_dual_bitop2_b32 v2, 3, v2 bitop3:0x40
	v_cndmask_b32_e32 v5, v7, v5, vcc_lo
	s_delay_alu instid0(VALU_DEP_2) | instskip(NEXT) | instid1(VALU_DEP_3)
	v_cndmask_b32_e32 v2, v3, v2, vcc_lo
	v_and_b32_e32 v3, 0x80000000, v4
	s_delay_alu instid0(VALU_DEP_3) | instskip(NEXT) | instid1(VALU_DEP_3)
	v_lshl_add_u32 v4, v5, 23, 0x37800000
	v_lshlrev_b32_e32 v2, 21, v2
	s_delay_alu instid0(VALU_DEP_1) | instskip(NEXT) | instid1(VALU_DEP_1)
	v_or3_b32 v2, v3, v4, v2
	v_cvt_f64_f32_e32 v[2:3], v2
.LBB6_442:
	s_or_b32 exec_lo, exec_lo, s20
	s_mov_b32 s18, 0
	s_branch .LBB6_448
.LBB6_443:
	s_mov_b32 s20, -1
                                        ; implicit-def: $vgpr2_vgpr3
	s_branch .LBB6_454
.LBB6_444:
	s_or_saveexec_b32 s20, s20
	v_mov_b64_e32 v[2:3], 0x7ff8000020000000
	s_xor_b32 exec_lo, exec_lo, s20
	s_cbranch_execz .LBB6_427
.LBB6_445:
	v_cmp_ne_u16_e32 vcc_lo, 0, v4
	v_mov_b64_e32 v[2:3], 0
	s_and_not1_b32 s18, s18, exec_lo
	s_and_b32 s21, vcc_lo, exec_lo
	s_delay_alu instid0(SALU_CYCLE_1)
	s_or_b32 s18, s18, s21
	s_or_b32 exec_lo, exec_lo, s20
	s_and_saveexec_b32 s20, s18
	s_cbranch_execnz .LBB6_428
	s_branch .LBB6_429
.LBB6_446:
	s_mov_b32 s18, -1
                                        ; implicit-def: $vgpr2_vgpr3
	s_branch .LBB6_451
.LBB6_447:
	s_mov_b32 s18, -1
                                        ; implicit-def: $vgpr2_vgpr3
.LBB6_448:
	s_delay_alu instid0(SALU_CYCLE_1)
	s_and_b32 vcc_lo, exec_lo, s18
	s_cbranch_vccz .LBB6_450
; %bb.449:
	s_wait_loadcnt 0x0
	global_load_u8 v2, v[0:1], off
	s_wait_loadcnt 0x0
	v_lshlrev_b32_e32 v2, 24, v2
	s_delay_alu instid0(VALU_DEP_1) | instskip(NEXT) | instid1(VALU_DEP_1)
	v_and_b32_e32 v3, 0x7f000000, v2
	v_clz_i32_u32_e32 v4, v3
	v_cmp_ne_u32_e32 vcc_lo, 0, v3
	v_add_nc_u32_e32 v6, 0x1000000, v3
	s_delay_alu instid0(VALU_DEP_3) | instskip(NEXT) | instid1(VALU_DEP_1)
	v_min_u32_e32 v4, 32, v4
	v_sub_nc_u32_e64 v4, v4, 4 clamp
	s_delay_alu instid0(VALU_DEP_1) | instskip(NEXT) | instid1(VALU_DEP_1)
	v_dual_lshlrev_b32 v5, v4, v3 :: v_dual_lshlrev_b32 v4, 23, v4
	v_lshrrev_b32_e32 v5, 4, v5
	s_delay_alu instid0(VALU_DEP_1) | instskip(NEXT) | instid1(VALU_DEP_1)
	v_dual_sub_nc_u32 v4, v5, v4 :: v_dual_ashrrev_i32 v5, 8, v6
	v_add_nc_u32_e32 v4, 0x3c000000, v4
	s_delay_alu instid0(VALU_DEP_1) | instskip(NEXT) | instid1(VALU_DEP_1)
	v_and_or_b32 v4, 0x7f800000, v5, v4
	v_cndmask_b32_e32 v3, 0, v4, vcc_lo
	s_delay_alu instid0(VALU_DEP_1) | instskip(NEXT) | instid1(VALU_DEP_1)
	v_and_or_b32 v2, 0x80000000, v2, v3
	v_cvt_f64_f32_e32 v[2:3], v2
.LBB6_450:
	s_mov_b32 s18, 0
.LBB6_451:
	s_delay_alu instid0(SALU_CYCLE_1)
	s_and_not1_b32 vcc_lo, exec_lo, s18
	s_cbranch_vccnz .LBB6_453
; %bb.452:
	s_wait_loadcnt 0x0
	global_load_u8 v2, v[0:1], off
	s_wait_loadcnt 0x0
	v_lshlrev_b32_e32 v3, 25, v2
	v_lshlrev_b16 v2, 8, v2
	s_delay_alu instid0(VALU_DEP_1) | instskip(SKIP_1) | instid1(VALU_DEP_2)
	v_and_or_b32 v5, 0x7f00, v2, 0.5
	v_bfe_i32 v2, v2, 0, 16
	v_dual_add_f32 v5, -0.5, v5 :: v_dual_lshrrev_b32 v4, 4, v3
	v_cmp_gt_u32_e32 vcc_lo, 0x8000000, v3
	s_delay_alu instid0(VALU_DEP_2) | instskip(NEXT) | instid1(VALU_DEP_1)
	v_or_b32_e32 v4, 0x70000000, v4
	v_mul_f32_e32 v4, 0x7800000, v4
	s_delay_alu instid0(VALU_DEP_1) | instskip(NEXT) | instid1(VALU_DEP_1)
	v_cndmask_b32_e32 v3, v4, v5, vcc_lo
	v_and_or_b32 v2, 0x80000000, v2, v3
	s_delay_alu instid0(VALU_DEP_1)
	v_cvt_f64_f32_e32 v[2:3], v2
.LBB6_453:
	s_mov_b32 s20, 0
	s_mov_b32 s18, -1
.LBB6_454:
	s_and_not1_b32 vcc_lo, exec_lo, s20
	s_cbranch_vccnz .LBB6_467
; %bb.455:
	s_cmp_gt_i32 s0, 14
	s_cbranch_scc0 .LBB6_458
; %bb.456:
	s_cmp_eq_u32 s0, 15
	s_cbranch_scc0 .LBB6_461
; %bb.457:
	s_wait_loadcnt 0x0
	global_load_u16 v2, v[0:1], off
	s_mov_b32 s18, -1
	s_mov_b32 s17, 0
	s_wait_loadcnt 0x0
	v_lshlrev_b32_e32 v2, 16, v2
	s_delay_alu instid0(VALU_DEP_1)
	v_cvt_f64_f32_e32 v[2:3], v2
	s_branch .LBB6_462
.LBB6_458:
	s_mov_b32 s20, -1
                                        ; implicit-def: $vgpr2_vgpr3
	s_branch .LBB6_463
.LBB6_459:
	s_or_saveexec_b32 s20, s20
	v_mov_b64_e32 v[2:3], 0x7ff8000020000000
	s_xor_b32 exec_lo, exec_lo, s20
	s_cbranch_execz .LBB6_440
.LBB6_460:
	v_cmp_ne_u16_e32 vcc_lo, 0, v4
	v_mov_b64_e32 v[2:3], 0
	s_and_not1_b32 s18, s18, exec_lo
	s_and_b32 s21, vcc_lo, exec_lo
	s_delay_alu instid0(SALU_CYCLE_1)
	s_or_b32 s18, s18, s21
	s_or_b32 exec_lo, exec_lo, s20
	s_and_saveexec_b32 s20, s18
	s_cbranch_execnz .LBB6_441
	s_branch .LBB6_442
.LBB6_461:
	s_mov_b32 s17, -1
                                        ; implicit-def: $vgpr2_vgpr3
.LBB6_462:
	s_mov_b32 s20, 0
.LBB6_463:
	s_delay_alu instid0(SALU_CYCLE_1)
	s_and_b32 vcc_lo, exec_lo, s20
	s_cbranch_vccz .LBB6_467
; %bb.464:
	s_cmp_eq_u32 s0, 11
	s_cbranch_scc0 .LBB6_466
; %bb.465:
	s_wait_loadcnt 0x0
	global_load_u8 v2, v[0:1], off
	s_mov_b32 s17, 0
	s_mov_b32 s18, -1
	s_wait_loadcnt 0x0
	v_cmp_ne_u16_e32 vcc_lo, 0, v2
	v_mov_b32_e32 v2, 0
	v_cndmask_b32_e64 v3, 0, 0x3ff00000, vcc_lo
	s_branch .LBB6_467
.LBB6_466:
	s_mov_b32 s17, -1
                                        ; implicit-def: $vgpr2_vgpr3
.LBB6_467:
	s_branch .LBB6_267
.LBB6_468:
	s_cmp_lt_i32 s0, 5
	s_cbranch_scc1 .LBB6_473
; %bb.469:
	s_cmp_lt_i32 s0, 8
	s_cbranch_scc1 .LBB6_474
; %bb.470:
	;; [unrolled: 3-line block ×3, first 2 shown]
	s_cmp_gt_i32 s0, 9
	s_cbranch_scc0 .LBB6_476
; %bb.472:
	s_wait_loadcnt 0x0
	global_load_b64 v[2:3], v[0:1], off
	s_mov_b32 s18, 0
	s_branch .LBB6_477
.LBB6_473:
	s_mov_b32 s18, -1
                                        ; implicit-def: $vgpr2_vgpr3
	s_branch .LBB6_495
.LBB6_474:
	s_mov_b32 s18, -1
                                        ; implicit-def: $vgpr2_vgpr3
	s_branch .LBB6_483
.LBB6_475:
	s_mov_b32 s18, -1
                                        ; implicit-def: $vgpr2_vgpr3
	s_branch .LBB6_480
.LBB6_476:
	s_mov_b32 s18, -1
                                        ; implicit-def: $vgpr2_vgpr3
.LBB6_477:
	s_delay_alu instid0(SALU_CYCLE_1)
	s_and_not1_b32 vcc_lo, exec_lo, s18
	s_cbranch_vccnz .LBB6_479
; %bb.478:
	s_wait_loadcnt 0x0
	global_load_b32 v2, v[0:1], off
	s_wait_loadcnt 0x0
	v_cvt_f64_f32_e32 v[2:3], v2
.LBB6_479:
	s_mov_b32 s18, 0
.LBB6_480:
	s_delay_alu instid0(SALU_CYCLE_1)
	s_and_not1_b32 vcc_lo, exec_lo, s18
	s_cbranch_vccnz .LBB6_482
; %bb.481:
	s_wait_loadcnt 0x0
	global_load_b32 v2, v[0:1], off
	s_wait_loadcnt 0x0
	v_cvt_f32_f16_e32 v2, v2
	s_delay_alu instid0(VALU_DEP_1)
	v_cvt_f64_f32_e32 v[2:3], v2
.LBB6_482:
	s_mov_b32 s18, 0
.LBB6_483:
	s_delay_alu instid0(SALU_CYCLE_1)
	s_and_not1_b32 vcc_lo, exec_lo, s18
	s_cbranch_vccnz .LBB6_494
; %bb.484:
	s_cmp_lt_i32 s0, 6
	s_cbranch_scc1 .LBB6_487
; %bb.485:
	s_cmp_gt_i32 s0, 6
	s_cbranch_scc0 .LBB6_488
; %bb.486:
	s_wait_loadcnt 0x0
	global_load_b64 v[2:3], v[0:1], off
	s_mov_b32 s18, 0
	s_branch .LBB6_489
.LBB6_487:
	s_mov_b32 s18, -1
                                        ; implicit-def: $vgpr2_vgpr3
	s_branch .LBB6_492
.LBB6_488:
	s_mov_b32 s18, -1
                                        ; implicit-def: $vgpr2_vgpr3
.LBB6_489:
	s_delay_alu instid0(SALU_CYCLE_1)
	s_and_not1_b32 vcc_lo, exec_lo, s18
	s_cbranch_vccnz .LBB6_491
; %bb.490:
	s_wait_loadcnt 0x0
	global_load_b32 v2, v[0:1], off
	s_wait_loadcnt 0x0
	v_cvt_f64_f32_e32 v[2:3], v2
.LBB6_491:
	s_mov_b32 s18, 0
.LBB6_492:
	s_delay_alu instid0(SALU_CYCLE_1)
	s_and_not1_b32 vcc_lo, exec_lo, s18
	s_cbranch_vccnz .LBB6_494
; %bb.493:
	s_wait_loadcnt 0x0
	global_load_u16 v2, v[0:1], off
	s_wait_loadcnt 0x0
	v_cvt_f32_f16_e32 v2, v2
	s_delay_alu instid0(VALU_DEP_1)
	v_cvt_f64_f32_e32 v[2:3], v2
.LBB6_494:
	s_mov_b32 s18, 0
.LBB6_495:
	s_delay_alu instid0(SALU_CYCLE_1)
	s_and_not1_b32 vcc_lo, exec_lo, s18
	s_cbranch_vccnz .LBB6_515
; %bb.496:
	s_cmp_lt_i32 s0, 2
	s_cbranch_scc1 .LBB6_500
; %bb.497:
	s_cmp_lt_i32 s0, 3
	s_cbranch_scc1 .LBB6_501
; %bb.498:
	s_cmp_gt_i32 s0, 3
	s_cbranch_scc0 .LBB6_502
; %bb.499:
	s_wait_loadcnt 0x0
	global_load_b64 v[2:3], v[0:1], off
	s_mov_b32 s18, 0
	s_wait_loadcnt 0x0
	v_cvt_f64_i32_e32 v[4:5], v3
	v_cvt_f64_u32_e32 v[2:3], v2
	s_delay_alu instid0(VALU_DEP_2) | instskip(NEXT) | instid1(VALU_DEP_1)
	v_ldexp_f64 v[4:5], v[4:5], 32
	v_add_f64_e32 v[2:3], v[4:5], v[2:3]
	s_branch .LBB6_503
.LBB6_500:
	s_mov_b32 s18, -1
                                        ; implicit-def: $vgpr2_vgpr3
	s_branch .LBB6_509
.LBB6_501:
	s_mov_b32 s18, -1
                                        ; implicit-def: $vgpr2_vgpr3
	s_branch .LBB6_506
.LBB6_502:
	s_mov_b32 s18, -1
                                        ; implicit-def: $vgpr2_vgpr3
.LBB6_503:
	s_delay_alu instid0(SALU_CYCLE_1)
	s_and_not1_b32 vcc_lo, exec_lo, s18
	s_cbranch_vccnz .LBB6_505
; %bb.504:
	s_wait_loadcnt 0x0
	global_load_b32 v2, v[0:1], off
	s_wait_loadcnt 0x0
	v_cvt_f64_i32_e32 v[2:3], v2
.LBB6_505:
	s_mov_b32 s18, 0
.LBB6_506:
	s_delay_alu instid0(SALU_CYCLE_1)
	s_and_not1_b32 vcc_lo, exec_lo, s18
	s_cbranch_vccnz .LBB6_508
; %bb.507:
	s_wait_loadcnt 0x0
	global_load_i16 v2, v[0:1], off
	s_wait_loadcnt 0x0
	v_cvt_f64_i32_e32 v[2:3], v2
.LBB6_508:
	s_mov_b32 s18, 0
.LBB6_509:
	s_delay_alu instid0(SALU_CYCLE_1)
	s_and_not1_b32 vcc_lo, exec_lo, s18
	s_cbranch_vccnz .LBB6_515
; %bb.510:
	s_cmp_gt_i32 s0, 0
	s_mov_b32 s0, 0
	s_cbranch_scc0 .LBB6_512
; %bb.511:
	s_wait_loadcnt 0x0
	global_load_i8 v2, v[0:1], off
	s_wait_loadcnt 0x0
	v_cvt_f64_i32_e32 v[2:3], v2
	s_branch .LBB6_513
.LBB6_512:
	s_mov_b32 s0, -1
                                        ; implicit-def: $vgpr2_vgpr3
.LBB6_513:
	s_delay_alu instid0(SALU_CYCLE_1)
	s_and_not1_b32 vcc_lo, exec_lo, s0
	s_cbranch_vccnz .LBB6_515
; %bb.514:
	global_load_u8 v0, v[0:1], off
	s_wait_loadcnt 0x0
	v_cvt_f64_u32_e32 v[2:3], v0
.LBB6_515:
	s_branch .LBB6_268
.LBB6_516:
	s_mov_b32 s20, 0
	s_mov_b32 s0, s13
.LBB6_517:
                                        ; implicit-def: $vgpr10
.LBB6_518:
	s_and_not1_b32 s18, s13, exec_lo
	s_and_b32 s0, s0, exec_lo
	s_and_not1_b32 s21, s15, exec_lo
	s_and_b32 s17, s17, exec_lo
	s_or_b32 s18, s18, s0
	s_or_b32 s17, s21, s17
	s_or_not1_b32 s0, s20, exec_lo
.LBB6_519:
	s_wait_xcnt 0x0
	s_or_b32 exec_lo, exec_lo, s19
	s_mov_b32 s20, 0
	s_mov_b32 s21, 0
	;; [unrolled: 1-line block ×3, first 2 shown]
                                        ; implicit-def: $vgpr0_vgpr1
                                        ; implicit-def: $vgpr2_vgpr3
	s_and_saveexec_b32 s19, s0
	s_cbranch_execz .LBB6_868
; %bb.520:
	s_mov_b32 s22, -1
	s_mov_b32 s0, s17
	s_mov_b32 s21, s18
	s_mov_b32 s20, exec_lo
	v_cmpx_gt_i32_e64 s14, v10
	s_cbranch_execz .LBB6_782
; %bb.521:
	v_mul_lo_u32 v0, v10, s9
	s_and_b32 s0, 0xffff, s3
	s_delay_alu instid0(SALU_CYCLE_1) | instskip(NEXT) | instid1(VALU_DEP_1)
	s_cmp_lt_i32 s0, 11
	v_ashrrev_i32_e32 v1, 31, v0
	s_delay_alu instid0(VALU_DEP_1)
	v_add_nc_u64_e32 v[0:1], s[6:7], v[0:1]
	s_cbranch_scc1 .LBB6_528
; %bb.522:
	s_cmp_gt_i32 s0, 25
	s_cbranch_scc0 .LBB6_529
; %bb.523:
	s_cmp_gt_i32 s0, 28
	s_cbranch_scc0 .LBB6_530
	;; [unrolled: 3-line block ×4, first 2 shown]
; %bb.526:
	s_cmp_eq_u32 s0, 46
	s_mov_b32 s23, 0
	s_cbranch_scc0 .LBB6_537
; %bb.527:
	s_wait_loadcnt 0x0
	global_load_b32 v2, v[0:1], off
	s_mov_b32 s21, 0
	s_wait_loadcnt 0x0
	v_lshlrev_b32_e32 v2, 16, v2
	s_delay_alu instid0(VALU_DEP_1)
	v_cvt_f64_f32_e32 v[2:3], v2
	s_branch .LBB6_539
.LBB6_528:
	s_mov_b32 s23, -1
	s_mov_b32 s22, 0
	s_mov_b32 s21, s17
                                        ; implicit-def: $vgpr2_vgpr3
	s_branch .LBB6_604
.LBB6_529:
	s_mov_b32 s23, -1
	s_mov_b32 s22, 0
	s_mov_b32 s21, s17
                                        ; implicit-def: $vgpr2_vgpr3
	s_branch .LBB6_568
.LBB6_530:
	s_mov_b32 s23, -1
	s_mov_b32 s22, 0
	s_mov_b32 s21, s17
                                        ; implicit-def: $vgpr2_vgpr3
	s_branch .LBB6_549
.LBB6_531:
	s_mov_b32 s23, -1
	s_mov_b32 s22, 0
	s_mov_b32 s21, s17
                                        ; implicit-def: $vgpr2_vgpr3
	s_branch .LBB6_544
.LBB6_532:
	s_and_not1_saveexec_b32 s23, s23
	s_cbranch_execz .LBB6_316
.LBB6_533:
	v_add_f32_e64 v3, 0x46000000, |v2|
	s_and_not1_b32 s22, s22, exec_lo
	s_delay_alu instid0(VALU_DEP_1) | instskip(NEXT) | instid1(VALU_DEP_1)
	v_and_b32_e32 v3, 0xff, v3
	v_cmp_ne_u32_e32 vcc_lo, 0, v3
	s_and_b32 s24, vcc_lo, exec_lo
	s_delay_alu instid0(SALU_CYCLE_1)
	s_or_b32 s22, s22, s24
	s_or_b32 exec_lo, exec_lo, s23
	v_mov_b32_e32 v6, 0
	s_and_saveexec_b32 s23, s22
	s_cbranch_execnz .LBB6_317
	s_branch .LBB6_318
.LBB6_534:
	s_mov_b32 s23, -1
	s_mov_b32 s22, 0
	s_mov_b32 s21, s17
	s_branch .LBB6_538
.LBB6_535:
	s_and_not1_saveexec_b32 s23, s23
	s_cbranch_execz .LBB6_329
.LBB6_536:
	v_add_f32_e64 v3, 0x42800000, |v2|
	s_and_not1_b32 s22, s22, exec_lo
	s_delay_alu instid0(VALU_DEP_1) | instskip(NEXT) | instid1(VALU_DEP_1)
	v_and_b32_e32 v3, 0xff, v3
	v_cmp_ne_u32_e32 vcc_lo, 0, v3
	s_and_b32 s24, vcc_lo, exec_lo
	s_delay_alu instid0(SALU_CYCLE_1)
	s_or_b32 s22, s22, s24
	s_or_b32 exec_lo, exec_lo, s23
	v_mov_b32_e32 v6, 0
	s_and_saveexec_b32 s23, s22
	s_cbranch_execnz .LBB6_330
	s_branch .LBB6_331
.LBB6_537:
	s_mov_b32 s21, -1
	s_mov_b32 s22, 0
.LBB6_538:
                                        ; implicit-def: $vgpr2_vgpr3
.LBB6_539:
	s_and_b32 vcc_lo, exec_lo, s23
	s_cbranch_vccz .LBB6_543
; %bb.540:
	s_cmp_eq_u32 s0, 44
	s_cbranch_scc0 .LBB6_542
; %bb.541:
	global_load_u8 v4, v[0:1], off
	s_mov_b32 s21, 0
	s_mov_b32 s22, -1
	s_wait_loadcnt 0x0
	v_cmp_ne_u32_e32 vcc_lo, 0xff, v4
	v_lshlrev_b32_e32 v2, 23, v4
	s_delay_alu instid0(VALU_DEP_1) | instskip(NEXT) | instid1(VALU_DEP_1)
	v_cvt_f64_f32_e32 v[2:3], v2
	v_cndmask_b32_e32 v2, 0x20000000, v2, vcc_lo
	s_delay_alu instid0(VALU_DEP_2) | instskip(SKIP_1) | instid1(VALU_DEP_2)
	v_cndmask_b32_e32 v3, 0x7ff80000, v3, vcc_lo
	v_cmp_ne_u32_e32 vcc_lo, 0, v4
	v_cndmask_b32_e32 v3, 0x38000000, v3, vcc_lo
	s_delay_alu instid0(VALU_DEP_4)
	v_cndmask_b32_e32 v2, 0, v2, vcc_lo
	s_branch .LBB6_543
.LBB6_542:
	s_mov_b32 s21, -1
                                        ; implicit-def: $vgpr2_vgpr3
.LBB6_543:
	s_mov_b32 s23, 0
.LBB6_544:
	s_delay_alu instid0(SALU_CYCLE_1)
	s_and_b32 vcc_lo, exec_lo, s23
	s_cbranch_vccz .LBB6_548
; %bb.545:
	s_cmp_eq_u32 s0, 29
	s_cbranch_scc0 .LBB6_547
; %bb.546:
	s_wait_loadcnt 0x0
	global_load_b64 v[2:3], v[0:1], off
	s_mov_b32 s22, -1
	s_mov_b32 s21, 0
	s_mov_b32 s23, 0
	s_wait_loadcnt 0x0
	v_cvt_f64_u32_e32 v[4:5], v3
	v_cvt_f64_u32_e32 v[2:3], v2
	s_delay_alu instid0(VALU_DEP_2) | instskip(NEXT) | instid1(VALU_DEP_1)
	v_ldexp_f64 v[4:5], v[4:5], 32
	v_add_f64_e32 v[2:3], v[4:5], v[2:3]
	s_branch .LBB6_549
.LBB6_547:
	s_mov_b32 s21, -1
                                        ; implicit-def: $vgpr2_vgpr3
.LBB6_548:
	s_mov_b32 s23, 0
.LBB6_549:
	s_delay_alu instid0(SALU_CYCLE_1)
	s_and_b32 vcc_lo, exec_lo, s23
	s_cbranch_vccz .LBB6_567
; %bb.550:
	s_cmp_lt_i32 s0, 27
	s_cbranch_scc1 .LBB6_553
; %bb.551:
	s_cmp_gt_i32 s0, 27
	s_cbranch_scc0 .LBB6_554
; %bb.552:
	s_wait_loadcnt 0x0
	global_load_b32 v2, v[0:1], off
	s_mov_b32 s22, 0
	s_wait_loadcnt 0x0
	v_cvt_f64_u32_e32 v[2:3], v2
	s_branch .LBB6_555
.LBB6_553:
	s_mov_b32 s22, -1
                                        ; implicit-def: $vgpr2_vgpr3
	s_branch .LBB6_558
.LBB6_554:
	s_mov_b32 s22, -1
                                        ; implicit-def: $vgpr2_vgpr3
.LBB6_555:
	s_delay_alu instid0(SALU_CYCLE_1)
	s_and_not1_b32 vcc_lo, exec_lo, s22
	s_cbranch_vccnz .LBB6_557
; %bb.556:
	s_wait_loadcnt 0x0
	global_load_u16 v2, v[0:1], off
	s_wait_loadcnt 0x0
	v_cvt_f64_u32_e32 v[2:3], v2
.LBB6_557:
	s_mov_b32 s22, 0
.LBB6_558:
	s_delay_alu instid0(SALU_CYCLE_1)
	s_and_not1_b32 vcc_lo, exec_lo, s22
	s_cbranch_vccnz .LBB6_566
; %bb.559:
	global_load_u8 v4, v[0:1], off
	s_mov_b32 s22, 0
	s_mov_b32 s23, exec_lo
	s_wait_loadcnt 0x0
	v_cmpx_lt_i16_e32 0x7f, v4
	s_xor_b32 s23, exec_lo, s23
	s_cbranch_execz .LBB6_580
; %bb.560:
	s_mov_b32 s22, -1
	s_mov_b32 s24, exec_lo
	v_cmpx_eq_u16_e32 0x80, v4
; %bb.561:
	s_xor_b32 s22, exec_lo, -1
; %bb.562:
	s_or_b32 exec_lo, exec_lo, s24
	s_delay_alu instid0(SALU_CYCLE_1)
	s_and_b32 s22, s22, exec_lo
	s_or_saveexec_b32 s23, s23
	v_mov_b64_e32 v[2:3], 0x7ff8000020000000
	s_xor_b32 exec_lo, exec_lo, s23
	s_cbranch_execnz .LBB6_581
.LBB6_563:
	s_or_b32 exec_lo, exec_lo, s23
	s_and_saveexec_b32 s23, s22
	s_cbranch_execz .LBB6_565
.LBB6_564:
	v_and_b32_e32 v2, 0xffff, v4
	s_delay_alu instid0(VALU_DEP_1) | instskip(SKIP_1) | instid1(VALU_DEP_2)
	v_and_b32_e32 v3, 7, v2
	v_bfe_u32 v7, v2, 3, 4
	v_clz_i32_u32_e32 v5, v3
	s_delay_alu instid0(VALU_DEP_2) | instskip(NEXT) | instid1(VALU_DEP_2)
	v_cmp_eq_u32_e32 vcc_lo, 0, v7
	v_min_u32_e32 v5, 32, v5
	s_delay_alu instid0(VALU_DEP_1) | instskip(NEXT) | instid1(VALU_DEP_1)
	v_subrev_nc_u32_e32 v6, 28, v5
	v_dual_lshlrev_b32 v2, v6, v2 :: v_dual_sub_nc_u32 v5, 29, v5
	s_delay_alu instid0(VALU_DEP_1) | instskip(NEXT) | instid1(VALU_DEP_2)
	v_dual_lshlrev_b32 v4, 24, v4 :: v_dual_bitop2_b32 v2, 7, v2 bitop3:0x40
	v_cndmask_b32_e32 v5, v7, v5, vcc_lo
	s_delay_alu instid0(VALU_DEP_2) | instskip(NEXT) | instid1(VALU_DEP_3)
	v_cndmask_b32_e32 v2, v3, v2, vcc_lo
	v_and_b32_e32 v3, 0x80000000, v4
	s_delay_alu instid0(VALU_DEP_3) | instskip(NEXT) | instid1(VALU_DEP_3)
	v_lshl_add_u32 v4, v5, 23, 0x3b800000
	v_lshlrev_b32_e32 v2, 20, v2
	s_delay_alu instid0(VALU_DEP_1) | instskip(NEXT) | instid1(VALU_DEP_1)
	v_or3_b32 v2, v3, v4, v2
	v_cvt_f64_f32_e32 v[2:3], v2
.LBB6_565:
	s_or_b32 exec_lo, exec_lo, s23
.LBB6_566:
	s_mov_b32 s22, -1
.LBB6_567:
	s_mov_b32 s23, 0
.LBB6_568:
	s_delay_alu instid0(SALU_CYCLE_1)
	s_and_b32 vcc_lo, exec_lo, s23
	s_cbranch_vccz .LBB6_603
; %bb.569:
	s_cmp_gt_i32 s0, 22
	s_cbranch_scc0 .LBB6_579
; %bb.570:
	s_cmp_lt_i32 s0, 24
	s_cbranch_scc1 .LBB6_582
; %bb.571:
	s_cmp_gt_i32 s0, 24
	s_cbranch_scc0 .LBB6_583
; %bb.572:
	global_load_u8 v4, v[0:1], off
	s_mov_b32 s22, 0
	s_mov_b32 s23, exec_lo
	s_wait_loadcnt 0x0
	v_cmpx_lt_i16_e32 0x7f, v4
	s_xor_b32 s23, exec_lo, s23
	s_cbranch_execz .LBB6_595
; %bb.573:
	s_mov_b32 s22, -1
	s_mov_b32 s24, exec_lo
	v_cmpx_eq_u16_e32 0x80, v4
; %bb.574:
	s_xor_b32 s22, exec_lo, -1
; %bb.575:
	s_or_b32 exec_lo, exec_lo, s24
	s_delay_alu instid0(SALU_CYCLE_1)
	s_and_b32 s22, s22, exec_lo
	s_or_saveexec_b32 s23, s23
	v_mov_b64_e32 v[2:3], 0x7ff8000020000000
	s_xor_b32 exec_lo, exec_lo, s23
	s_cbranch_execnz .LBB6_596
.LBB6_576:
	s_or_b32 exec_lo, exec_lo, s23
	s_and_saveexec_b32 s23, s22
	s_cbranch_execz .LBB6_578
.LBB6_577:
	v_and_b32_e32 v2, 0xffff, v4
	s_delay_alu instid0(VALU_DEP_1) | instskip(SKIP_1) | instid1(VALU_DEP_2)
	v_and_b32_e32 v3, 3, v2
	v_bfe_u32 v7, v2, 2, 5
	v_clz_i32_u32_e32 v5, v3
	s_delay_alu instid0(VALU_DEP_2) | instskip(NEXT) | instid1(VALU_DEP_2)
	v_cmp_eq_u32_e32 vcc_lo, 0, v7
	v_min_u32_e32 v5, 32, v5
	s_delay_alu instid0(VALU_DEP_1) | instskip(NEXT) | instid1(VALU_DEP_1)
	v_subrev_nc_u32_e32 v6, 29, v5
	v_dual_lshlrev_b32 v2, v6, v2 :: v_dual_sub_nc_u32 v5, 30, v5
	s_delay_alu instid0(VALU_DEP_1) | instskip(NEXT) | instid1(VALU_DEP_2)
	v_dual_lshlrev_b32 v4, 24, v4 :: v_dual_bitop2_b32 v2, 3, v2 bitop3:0x40
	v_cndmask_b32_e32 v5, v7, v5, vcc_lo
	s_delay_alu instid0(VALU_DEP_2) | instskip(NEXT) | instid1(VALU_DEP_3)
	v_cndmask_b32_e32 v2, v3, v2, vcc_lo
	v_and_b32_e32 v3, 0x80000000, v4
	s_delay_alu instid0(VALU_DEP_3) | instskip(NEXT) | instid1(VALU_DEP_3)
	v_lshl_add_u32 v4, v5, 23, 0x37800000
	v_lshlrev_b32_e32 v2, 21, v2
	s_delay_alu instid0(VALU_DEP_1) | instskip(NEXT) | instid1(VALU_DEP_1)
	v_or3_b32 v2, v3, v4, v2
	v_cvt_f64_f32_e32 v[2:3], v2
.LBB6_578:
	s_or_b32 exec_lo, exec_lo, s23
	s_mov_b32 s22, 0
	s_branch .LBB6_584
.LBB6_579:
	s_mov_b32 s23, -1
                                        ; implicit-def: $vgpr2_vgpr3
	s_branch .LBB6_590
.LBB6_580:
	s_or_saveexec_b32 s23, s23
	v_mov_b64_e32 v[2:3], 0x7ff8000020000000
	s_xor_b32 exec_lo, exec_lo, s23
	s_cbranch_execz .LBB6_563
.LBB6_581:
	v_cmp_ne_u16_e32 vcc_lo, 0, v4
	v_mov_b64_e32 v[2:3], 0
	s_and_not1_b32 s22, s22, exec_lo
	s_and_b32 s24, vcc_lo, exec_lo
	s_delay_alu instid0(SALU_CYCLE_1)
	s_or_b32 s22, s22, s24
	s_or_b32 exec_lo, exec_lo, s23
	s_and_saveexec_b32 s23, s22
	s_cbranch_execnz .LBB6_564
	s_branch .LBB6_565
.LBB6_582:
	s_mov_b32 s22, -1
                                        ; implicit-def: $vgpr2_vgpr3
	s_branch .LBB6_587
.LBB6_583:
	s_mov_b32 s22, -1
                                        ; implicit-def: $vgpr2_vgpr3
.LBB6_584:
	s_delay_alu instid0(SALU_CYCLE_1)
	s_and_b32 vcc_lo, exec_lo, s22
	s_cbranch_vccz .LBB6_586
; %bb.585:
	s_wait_loadcnt 0x0
	global_load_u8 v2, v[0:1], off
	s_wait_loadcnt 0x0
	v_lshlrev_b32_e32 v2, 24, v2
	s_delay_alu instid0(VALU_DEP_1) | instskip(NEXT) | instid1(VALU_DEP_1)
	v_and_b32_e32 v3, 0x7f000000, v2
	v_clz_i32_u32_e32 v4, v3
	v_cmp_ne_u32_e32 vcc_lo, 0, v3
	v_add_nc_u32_e32 v6, 0x1000000, v3
	s_delay_alu instid0(VALU_DEP_3) | instskip(NEXT) | instid1(VALU_DEP_1)
	v_min_u32_e32 v4, 32, v4
	v_sub_nc_u32_e64 v4, v4, 4 clamp
	s_delay_alu instid0(VALU_DEP_1) | instskip(NEXT) | instid1(VALU_DEP_1)
	v_dual_lshlrev_b32 v5, v4, v3 :: v_dual_lshlrev_b32 v4, 23, v4
	v_lshrrev_b32_e32 v5, 4, v5
	s_delay_alu instid0(VALU_DEP_1) | instskip(NEXT) | instid1(VALU_DEP_1)
	v_dual_sub_nc_u32 v4, v5, v4 :: v_dual_ashrrev_i32 v5, 8, v6
	v_add_nc_u32_e32 v4, 0x3c000000, v4
	s_delay_alu instid0(VALU_DEP_1) | instskip(NEXT) | instid1(VALU_DEP_1)
	v_and_or_b32 v4, 0x7f800000, v5, v4
	v_cndmask_b32_e32 v3, 0, v4, vcc_lo
	s_delay_alu instid0(VALU_DEP_1) | instskip(NEXT) | instid1(VALU_DEP_1)
	v_and_or_b32 v2, 0x80000000, v2, v3
	v_cvt_f64_f32_e32 v[2:3], v2
.LBB6_586:
	s_mov_b32 s22, 0
.LBB6_587:
	s_delay_alu instid0(SALU_CYCLE_1)
	s_and_not1_b32 vcc_lo, exec_lo, s22
	s_cbranch_vccnz .LBB6_589
; %bb.588:
	s_wait_loadcnt 0x0
	global_load_u8 v2, v[0:1], off
	s_wait_loadcnt 0x0
	v_lshlrev_b32_e32 v3, 25, v2
	v_lshlrev_b16 v2, 8, v2
	s_delay_alu instid0(VALU_DEP_1) | instskip(SKIP_1) | instid1(VALU_DEP_2)
	v_and_or_b32 v5, 0x7f00, v2, 0.5
	v_bfe_i32 v2, v2, 0, 16
	v_dual_add_f32 v5, -0.5, v5 :: v_dual_lshrrev_b32 v4, 4, v3
	v_cmp_gt_u32_e32 vcc_lo, 0x8000000, v3
	s_delay_alu instid0(VALU_DEP_2) | instskip(NEXT) | instid1(VALU_DEP_1)
	v_or_b32_e32 v4, 0x70000000, v4
	v_mul_f32_e32 v4, 0x7800000, v4
	s_delay_alu instid0(VALU_DEP_1) | instskip(NEXT) | instid1(VALU_DEP_1)
	v_cndmask_b32_e32 v3, v4, v5, vcc_lo
	v_and_or_b32 v2, 0x80000000, v2, v3
	s_delay_alu instid0(VALU_DEP_1)
	v_cvt_f64_f32_e32 v[2:3], v2
.LBB6_589:
	s_mov_b32 s23, 0
	s_mov_b32 s22, -1
.LBB6_590:
	s_and_not1_b32 vcc_lo, exec_lo, s23
	s_cbranch_vccnz .LBB6_603
; %bb.591:
	s_cmp_gt_i32 s0, 14
	s_cbranch_scc0 .LBB6_594
; %bb.592:
	s_cmp_eq_u32 s0, 15
	s_cbranch_scc0 .LBB6_597
; %bb.593:
	s_wait_loadcnt 0x0
	global_load_u16 v2, v[0:1], off
	s_mov_b32 s22, -1
	s_mov_b32 s21, 0
	s_wait_loadcnt 0x0
	v_lshlrev_b32_e32 v2, 16, v2
	s_delay_alu instid0(VALU_DEP_1)
	v_cvt_f64_f32_e32 v[2:3], v2
	s_branch .LBB6_598
.LBB6_594:
	s_mov_b32 s23, -1
                                        ; implicit-def: $vgpr2_vgpr3
	s_branch .LBB6_599
.LBB6_595:
	s_or_saveexec_b32 s23, s23
	v_mov_b64_e32 v[2:3], 0x7ff8000020000000
	s_xor_b32 exec_lo, exec_lo, s23
	s_cbranch_execz .LBB6_576
.LBB6_596:
	v_cmp_ne_u16_e32 vcc_lo, 0, v4
	v_mov_b64_e32 v[2:3], 0
	s_and_not1_b32 s22, s22, exec_lo
	s_and_b32 s24, vcc_lo, exec_lo
	s_delay_alu instid0(SALU_CYCLE_1)
	s_or_b32 s22, s22, s24
	s_or_b32 exec_lo, exec_lo, s23
	s_and_saveexec_b32 s23, s22
	s_cbranch_execnz .LBB6_577
	s_branch .LBB6_578
.LBB6_597:
	s_mov_b32 s21, -1
                                        ; implicit-def: $vgpr2_vgpr3
.LBB6_598:
	s_mov_b32 s23, 0
.LBB6_599:
	s_delay_alu instid0(SALU_CYCLE_1)
	s_and_b32 vcc_lo, exec_lo, s23
	s_cbranch_vccz .LBB6_603
; %bb.600:
	s_cmp_eq_u32 s0, 11
	s_cbranch_scc0 .LBB6_602
; %bb.601:
	s_wait_loadcnt 0x0
	global_load_u8 v2, v[0:1], off
	s_mov_b32 s21, 0
	s_mov_b32 s22, -1
	s_wait_loadcnt 0x0
	v_cmp_ne_u16_e32 vcc_lo, 0, v2
	v_mov_b32_e32 v2, 0
	v_cndmask_b32_e64 v3, 0, 0x3ff00000, vcc_lo
	s_branch .LBB6_603
.LBB6_602:
	s_mov_b32 s21, -1
                                        ; implicit-def: $vgpr2_vgpr3
.LBB6_603:
	s_mov_b32 s23, 0
.LBB6_604:
	s_delay_alu instid0(SALU_CYCLE_1)
	s_and_b32 vcc_lo, exec_lo, s23
	s_cbranch_vccz .LBB6_653
; %bb.605:
	s_cmp_lt_i32 s0, 5
	s_cbranch_scc1 .LBB6_610
; %bb.606:
	s_cmp_lt_i32 s0, 8
	s_cbranch_scc1 .LBB6_611
	;; [unrolled: 3-line block ×3, first 2 shown]
; %bb.608:
	s_cmp_gt_i32 s0, 9
	s_cbranch_scc0 .LBB6_613
; %bb.609:
	s_wait_loadcnt 0x0
	global_load_b64 v[2:3], v[0:1], off
	s_mov_b32 s22, 0
	s_branch .LBB6_614
.LBB6_610:
	s_mov_b32 s22, -1
                                        ; implicit-def: $vgpr2_vgpr3
	s_branch .LBB6_632
.LBB6_611:
	s_mov_b32 s22, -1
                                        ; implicit-def: $vgpr2_vgpr3
	s_branch .LBB6_620
.LBB6_612:
	s_mov_b32 s22, -1
                                        ; implicit-def: $vgpr2_vgpr3
	s_branch .LBB6_617
.LBB6_613:
	s_mov_b32 s22, -1
                                        ; implicit-def: $vgpr2_vgpr3
.LBB6_614:
	s_delay_alu instid0(SALU_CYCLE_1)
	s_and_not1_b32 vcc_lo, exec_lo, s22
	s_cbranch_vccnz .LBB6_616
; %bb.615:
	s_wait_loadcnt 0x0
	global_load_b32 v2, v[0:1], off
	s_wait_loadcnt 0x0
	v_cvt_f64_f32_e32 v[2:3], v2
.LBB6_616:
	s_mov_b32 s22, 0
.LBB6_617:
	s_delay_alu instid0(SALU_CYCLE_1)
	s_and_not1_b32 vcc_lo, exec_lo, s22
	s_cbranch_vccnz .LBB6_619
; %bb.618:
	s_wait_loadcnt 0x0
	global_load_b32 v2, v[0:1], off
	s_wait_loadcnt 0x0
	v_cvt_f32_f16_e32 v2, v2
	s_delay_alu instid0(VALU_DEP_1)
	v_cvt_f64_f32_e32 v[2:3], v2
.LBB6_619:
	s_mov_b32 s22, 0
.LBB6_620:
	s_delay_alu instid0(SALU_CYCLE_1)
	s_and_not1_b32 vcc_lo, exec_lo, s22
	s_cbranch_vccnz .LBB6_631
; %bb.621:
	s_cmp_lt_i32 s0, 6
	s_cbranch_scc1 .LBB6_624
; %bb.622:
	s_cmp_gt_i32 s0, 6
	s_cbranch_scc0 .LBB6_625
; %bb.623:
	s_wait_loadcnt 0x0
	global_load_b64 v[2:3], v[0:1], off
	s_mov_b32 s22, 0
	s_branch .LBB6_626
.LBB6_624:
	s_mov_b32 s22, -1
                                        ; implicit-def: $vgpr2_vgpr3
	s_branch .LBB6_629
.LBB6_625:
	s_mov_b32 s22, -1
                                        ; implicit-def: $vgpr2_vgpr3
.LBB6_626:
	s_delay_alu instid0(SALU_CYCLE_1)
	s_and_not1_b32 vcc_lo, exec_lo, s22
	s_cbranch_vccnz .LBB6_628
; %bb.627:
	s_wait_loadcnt 0x0
	global_load_b32 v2, v[0:1], off
	s_wait_loadcnt 0x0
	v_cvt_f64_f32_e32 v[2:3], v2
.LBB6_628:
	s_mov_b32 s22, 0
.LBB6_629:
	s_delay_alu instid0(SALU_CYCLE_1)
	s_and_not1_b32 vcc_lo, exec_lo, s22
	s_cbranch_vccnz .LBB6_631
; %bb.630:
	s_wait_loadcnt 0x0
	global_load_u16 v2, v[0:1], off
	s_wait_loadcnt 0x0
	v_cvt_f32_f16_e32 v2, v2
	s_delay_alu instid0(VALU_DEP_1)
	v_cvt_f64_f32_e32 v[2:3], v2
.LBB6_631:
	s_mov_b32 s22, 0
.LBB6_632:
	s_delay_alu instid0(SALU_CYCLE_1)
	s_and_not1_b32 vcc_lo, exec_lo, s22
	s_cbranch_vccnz .LBB6_652
; %bb.633:
	s_cmp_lt_i32 s0, 2
	s_cbranch_scc1 .LBB6_637
; %bb.634:
	s_cmp_lt_i32 s0, 3
	s_cbranch_scc1 .LBB6_638
; %bb.635:
	s_cmp_gt_i32 s0, 3
	s_cbranch_scc0 .LBB6_639
; %bb.636:
	s_wait_loadcnt 0x0
	global_load_b64 v[2:3], v[0:1], off
	s_mov_b32 s22, 0
	s_wait_loadcnt 0x0
	v_cvt_f64_i32_e32 v[4:5], v3
	v_cvt_f64_u32_e32 v[2:3], v2
	s_delay_alu instid0(VALU_DEP_2) | instskip(NEXT) | instid1(VALU_DEP_1)
	v_ldexp_f64 v[4:5], v[4:5], 32
	v_add_f64_e32 v[2:3], v[4:5], v[2:3]
	s_branch .LBB6_640
.LBB6_637:
	s_mov_b32 s22, -1
                                        ; implicit-def: $vgpr2_vgpr3
	s_branch .LBB6_646
.LBB6_638:
	s_mov_b32 s22, -1
                                        ; implicit-def: $vgpr2_vgpr3
	s_branch .LBB6_643
.LBB6_639:
	s_mov_b32 s22, -1
                                        ; implicit-def: $vgpr2_vgpr3
.LBB6_640:
	s_delay_alu instid0(SALU_CYCLE_1)
	s_and_not1_b32 vcc_lo, exec_lo, s22
	s_cbranch_vccnz .LBB6_642
; %bb.641:
	s_wait_loadcnt 0x0
	global_load_b32 v2, v[0:1], off
	s_wait_loadcnt 0x0
	v_cvt_f64_i32_e32 v[2:3], v2
.LBB6_642:
	s_mov_b32 s22, 0
.LBB6_643:
	s_delay_alu instid0(SALU_CYCLE_1)
	s_and_not1_b32 vcc_lo, exec_lo, s22
	s_cbranch_vccnz .LBB6_645
; %bb.644:
	s_wait_loadcnt 0x0
	global_load_i16 v2, v[0:1], off
	s_wait_loadcnt 0x0
	v_cvt_f64_i32_e32 v[2:3], v2
.LBB6_645:
	s_mov_b32 s22, 0
.LBB6_646:
	s_delay_alu instid0(SALU_CYCLE_1)
	s_and_not1_b32 vcc_lo, exec_lo, s22
	s_cbranch_vccnz .LBB6_652
; %bb.647:
	s_cmp_gt_i32 s0, 0
	s_mov_b32 s0, 0
	s_cbranch_scc0 .LBB6_649
; %bb.648:
	s_wait_loadcnt 0x0
	global_load_i8 v2, v[0:1], off
	s_wait_loadcnt 0x0
	v_cvt_f64_i32_e32 v[2:3], v2
	s_branch .LBB6_650
.LBB6_649:
	s_mov_b32 s0, -1
                                        ; implicit-def: $vgpr2_vgpr3
.LBB6_650:
	s_delay_alu instid0(SALU_CYCLE_1)
	s_and_not1_b32 vcc_lo, exec_lo, s0
	s_cbranch_vccnz .LBB6_652
; %bb.651:
	global_load_u8 v0, v[0:1], off
	s_wait_loadcnt 0x0
	v_cvt_f64_u32_e32 v[2:3], v0
.LBB6_652:
	s_mov_b32 s22, -1
.LBB6_653:
	s_delay_alu instid0(SALU_CYCLE_1)
	s_and_not1_b32 vcc_lo, exec_lo, s22
	s_cbranch_vccnz .LBB6_663
; %bb.654:
	s_wait_xcnt 0x0
	v_mov_b64_e32 v[0:1], 1.0
	s_mov_b32 s0, exec_lo
	s_wait_loadcnt 0x0
	s_delay_alu instid0(VALU_DEP_2)
	v_cmpx_lt_f64_e32 s[10:11], v[2:3]
	s_cbranch_execz .LBB6_656
; %bb.655:
	v_add_f64_e32 v[0:1], 0x3e7ad7f29abcaf48, v[2:3]
	s_delay_alu instid0(VALU_DEP_1) | instskip(NEXT) | instid1(VALU_DEP_1)
	v_div_scale_f64 v[2:3], null, v[0:1], v[0:1], s[10:11]
	v_rcp_f64_e32 v[4:5], v[2:3]
	v_nop
	s_delay_alu instid0(TRANS32_DEP_1) | instskip(NEXT) | instid1(VALU_DEP_1)
	v_fma_f64 v[6:7], -v[2:3], v[4:5], 1.0
	v_fmac_f64_e32 v[4:5], v[4:5], v[6:7]
	s_delay_alu instid0(VALU_DEP_1) | instskip(NEXT) | instid1(VALU_DEP_1)
	v_fma_f64 v[6:7], -v[2:3], v[4:5], 1.0
	v_fmac_f64_e32 v[4:5], v[4:5], v[6:7]
	v_div_scale_f64 v[6:7], vcc_lo, s[10:11], v[0:1], s[10:11]
	s_delay_alu instid0(VALU_DEP_1) | instskip(NEXT) | instid1(VALU_DEP_1)
	v_mul_f64_e32 v[8:9], v[6:7], v[4:5]
	v_fma_f64 v[2:3], -v[2:3], v[8:9], v[6:7]
	s_delay_alu instid0(VALU_DEP_1) | instskip(NEXT) | instid1(VALU_DEP_1)
	v_div_fmas_f64 v[2:3], v[2:3], v[4:5], v[8:9]
	v_div_fixup_f64 v[0:1], v[2:3], v[0:1], s[10:11]
.LBB6_656:
	s_or_b32 exec_lo, exec_lo, s0
	v_mul_lo_u32 v2, v10, s8
	s_and_b32 s22, s2, 0xff
	s_delay_alu instid0(SALU_CYCLE_1) | instskip(NEXT) | instid1(VALU_DEP_1)
	s_cmp_lt_i32 s22, 11
	v_ashrrev_i32_e32 v3, 31, v2
	s_delay_alu instid0(VALU_DEP_1)
	v_add_nc_u64_e32 v[4:5], s[4:5], v[2:3]
	s_cbranch_scc1 .LBB6_664
; %bb.657:
	s_and_b32 s23, 0xffff, s22
	s_delay_alu instid0(SALU_CYCLE_1)
	s_cmp_gt_i32 s23, 25
	s_cbranch_scc0 .LBB6_665
; %bb.658:
	s_cmp_gt_i32 s23, 28
	s_cbranch_scc0 .LBB6_666
; %bb.659:
	;; [unrolled: 3-line block ×4, first 2 shown]
	s_mov_b32 s25, 0
	s_mov_b32 s0, -1
	s_cmp_eq_u32 s23, 46
	s_mov_b32 s24, 0
	s_cbranch_scc0 .LBB6_669
; %bb.662:
	s_delay_alu instid0(VALU_DEP_4) | instskip(SKIP_2) | instid1(VALU_DEP_1)
	v_cvt_f32_f64_e32 v2, v[0:1]
	s_mov_b32 s24, -1
	s_mov_b32 s0, 0
	v_bfe_u32 v3, v2, 16, 1
	v_cmp_o_f32_e32 vcc_lo, v2, v2
	s_delay_alu instid0(VALU_DEP_2) | instskip(NEXT) | instid1(VALU_DEP_1)
	v_add3_u32 v3, v2, v3, 0x7fff
	v_lshrrev_b32_e32 v3, 16, v3
	s_delay_alu instid0(VALU_DEP_1)
	v_cndmask_b32_e32 v2, 0x7fc0, v3, vcc_lo
	global_store_b32 v[4:5], v2, off
	s_branch .LBB6_669
.LBB6_663:
	s_mov_b32 s22, 0
	s_mov_b32 s0, s18
	s_branch .LBB6_780
.LBB6_664:
	s_mov_b32 s23, -1
	s_mov_b32 s24, 0
	s_mov_b32 s0, s18
	s_branch .LBB6_738
.LBB6_665:
	s_mov_b32 s25, -1
	s_mov_b32 s24, 0
	s_mov_b32 s0, s18
	s_branch .LBB6_696
.LBB6_666:
	s_mov_b32 s25, -1
	s_mov_b32 s24, 0
	s_mov_b32 s0, s18
	s_branch .LBB6_679
.LBB6_667:
	s_mov_b32 s25, -1
	s_mov_b32 s24, 0
	s_mov_b32 s0, s18
	s_branch .LBB6_675
.LBB6_668:
	s_mov_b32 s25, -1
	s_mov_b32 s24, 0
	s_mov_b32 s0, s18
.LBB6_669:
	s_and_b32 vcc_lo, exec_lo, s25
	s_cbranch_vccz .LBB6_674
; %bb.670:
	s_cmp_eq_u32 s23, 44
	s_mov_b32 s0, -1
	s_cbranch_scc0 .LBB6_674
; %bb.671:
	s_wait_xcnt 0x0
	s_delay_alu instid0(VALU_DEP_4) | instskip(SKIP_2) | instid1(VALU_DEP_2)
	v_cvt_f32_f64_e32 v2, v[0:1]
	v_mov_b32_e32 v3, 0xff
	s_mov_b32 s24, exec_lo
	v_bfe_u32 v6, v2, 23, 8
	s_delay_alu instid0(VALU_DEP_1)
	v_cmpx_ne_u32_e32 0xff, v6
	s_cbranch_execz .LBB6_673
; %bb.672:
	v_and_b32_e32 v3, 0x400000, v2
	v_and_or_b32 v6, 0x3fffff, v2, v6
	v_lshrrev_b32_e32 v2, 23, v2
	s_delay_alu instid0(VALU_DEP_3) | instskip(NEXT) | instid1(VALU_DEP_3)
	v_cmp_ne_u32_e32 vcc_lo, 0, v3
	v_cmp_ne_u32_e64 s0, 0, v6
	s_and_b32 s0, vcc_lo, s0
	s_delay_alu instid0(SALU_CYCLE_1) | instskip(NEXT) | instid1(VALU_DEP_1)
	v_cndmask_b32_e64 v3, 0, 1, s0
	v_add_nc_u32_e32 v3, v2, v3
.LBB6_673:
	s_or_b32 exec_lo, exec_lo, s24
	s_mov_b32 s24, -1
	s_mov_b32 s0, 0
	global_store_b8 v[4:5], v3, off
.LBB6_674:
	s_mov_b32 s25, 0
.LBB6_675:
	s_delay_alu instid0(SALU_CYCLE_1)
	s_and_b32 vcc_lo, exec_lo, s25
	s_cbranch_vccz .LBB6_678
; %bb.676:
	s_cmp_eq_u32 s23, 29
	s_mov_b32 s0, -1
	s_cbranch_scc0 .LBB6_678
; %bb.677:
	s_wait_xcnt 0x0
	s_delay_alu instid0(VALU_DEP_4) | instskip(SKIP_3) | instid1(VALU_DEP_1)
	v_trunc_f64_e32 v[2:3], v[0:1]
	s_mov_b32 s24, -1
	s_mov_b32 s0, 0
	s_mov_b32 s25, 0
	v_ldexp_f64 v[6:7], v[2:3], 0xffffffe0
	s_delay_alu instid0(VALU_DEP_1) | instskip(NEXT) | instid1(VALU_DEP_1)
	v_floor_f64_e32 v[6:7], v[6:7]
	v_fmamk_f64 v[2:3], v[6:7], 0xc1f00000, v[2:3]
	v_cvt_u32_f64_e32 v7, v[6:7]
	s_delay_alu instid0(VALU_DEP_2)
	v_cvt_u32_f64_e32 v6, v[2:3]
	global_store_b64 v[4:5], v[6:7], off
	s_branch .LBB6_679
.LBB6_678:
	s_mov_b32 s25, 0
.LBB6_679:
	s_delay_alu instid0(SALU_CYCLE_1)
	s_and_b32 vcc_lo, exec_lo, s25
	s_cbranch_vccz .LBB6_695
; %bb.680:
	s_cmp_lt_i32 s23, 27
	s_mov_b32 s24, -1
	s_cbranch_scc1 .LBB6_686
; %bb.681:
	s_wait_xcnt 0x0
	s_delay_alu instid0(VALU_DEP_4)
	v_cvt_u32_f64_e32 v2, v[0:1]
	s_cmp_gt_i32 s23, 27
	s_cbranch_scc0 .LBB6_683
; %bb.682:
	s_mov_b32 s24, 0
	global_store_b32 v[4:5], v2, off
.LBB6_683:
	s_and_not1_b32 vcc_lo, exec_lo, s24
	s_cbranch_vccnz .LBB6_685
; %bb.684:
	global_store_b16 v[4:5], v2, off
.LBB6_685:
	s_mov_b32 s24, 0
.LBB6_686:
	s_delay_alu instid0(SALU_CYCLE_1)
	s_and_not1_b32 vcc_lo, exec_lo, s24
	s_cbranch_vccnz .LBB6_694
; %bb.687:
	s_wait_xcnt 0x0
	s_delay_alu instid0(VALU_DEP_4) | instskip(SKIP_2) | instid1(VALU_DEP_2)
	v_cvt_f32_f64_e32 v2, v[0:1]
	v_mov_b32_e32 v6, 0x80
	s_mov_b32 s24, exec_lo
	v_and_b32_e32 v3, 0x7fffffff, v2
	s_delay_alu instid0(VALU_DEP_1)
	v_cmpx_gt_u32_e32 0x43800000, v3
	s_cbranch_execz .LBB6_693
; %bb.688:
	v_cmp_lt_u32_e32 vcc_lo, 0x3bffffff, v3
	s_mov_b32 s25, 0
                                        ; implicit-def: $vgpr3
	s_and_saveexec_b32 s26, vcc_lo
	s_delay_alu instid0(SALU_CYCLE_1)
	s_xor_b32 s26, exec_lo, s26
	s_cbranch_execz .LBB6_795
; %bb.689:
	v_bfe_u32 v3, v2, 20, 1
	s_mov_b32 s25, exec_lo
	s_delay_alu instid0(VALU_DEP_1) | instskip(NEXT) | instid1(VALU_DEP_1)
	v_add3_u32 v3, v2, v3, 0x487ffff
	v_lshrrev_b32_e32 v3, 20, v3
	s_and_not1_saveexec_b32 s26, s26
	s_cbranch_execnz .LBB6_796
.LBB6_690:
	s_or_b32 exec_lo, exec_lo, s26
	v_mov_b32_e32 v6, 0
	s_and_saveexec_b32 s26, s25
.LBB6_691:
	v_lshrrev_b32_e32 v2, 24, v2
	s_delay_alu instid0(VALU_DEP_1)
	v_and_or_b32 v6, 0x80, v2, v3
.LBB6_692:
	s_or_b32 exec_lo, exec_lo, s26
.LBB6_693:
	s_delay_alu instid0(SALU_CYCLE_1)
	s_or_b32 exec_lo, exec_lo, s24
	global_store_b8 v[4:5], v6, off
.LBB6_694:
	s_mov_b32 s24, -1
.LBB6_695:
	s_mov_b32 s25, 0
.LBB6_696:
	s_delay_alu instid0(SALU_CYCLE_1)
	s_and_b32 vcc_lo, exec_lo, s25
	s_cbranch_vccz .LBB6_737
; %bb.697:
	s_cmp_gt_i32 s23, 22
	s_mov_b32 s25, -1
	s_cbranch_scc0 .LBB6_729
; %bb.698:
	s_cmp_lt_i32 s23, 24
	s_mov_b32 s24, -1
	s_cbranch_scc1 .LBB6_718
; %bb.699:
	s_cmp_gt_i32 s23, 24
	s_cbranch_scc0 .LBB6_707
; %bb.700:
	s_wait_xcnt 0x0
	s_delay_alu instid0(VALU_DEP_4) | instskip(SKIP_2) | instid1(VALU_DEP_2)
	v_cvt_f32_f64_e32 v2, v[0:1]
	v_mov_b32_e32 v6, 0x80
	s_mov_b32 s24, exec_lo
	v_and_b32_e32 v3, 0x7fffffff, v2
	s_delay_alu instid0(VALU_DEP_1)
	v_cmpx_gt_u32_e32 0x47800000, v3
	s_cbranch_execz .LBB6_706
; %bb.701:
	v_cmp_lt_u32_e32 vcc_lo, 0x37ffffff, v3
	s_mov_b32 s25, 0
                                        ; implicit-def: $vgpr3
	s_and_saveexec_b32 s26, vcc_lo
	s_delay_alu instid0(SALU_CYCLE_1)
	s_xor_b32 s26, exec_lo, s26
	s_cbranch_execz .LBB6_798
; %bb.702:
	v_bfe_u32 v3, v2, 21, 1
	s_mov_b32 s25, exec_lo
	s_delay_alu instid0(VALU_DEP_1) | instskip(NEXT) | instid1(VALU_DEP_1)
	v_add3_u32 v3, v2, v3, 0x88fffff
	v_lshrrev_b32_e32 v3, 21, v3
	s_and_not1_saveexec_b32 s26, s26
	s_cbranch_execnz .LBB6_799
.LBB6_703:
	s_or_b32 exec_lo, exec_lo, s26
	v_mov_b32_e32 v6, 0
	s_and_saveexec_b32 s26, s25
.LBB6_704:
	v_lshrrev_b32_e32 v2, 24, v2
	s_delay_alu instid0(VALU_DEP_1)
	v_and_or_b32 v6, 0x80, v2, v3
.LBB6_705:
	s_or_b32 exec_lo, exec_lo, s26
.LBB6_706:
	s_delay_alu instid0(SALU_CYCLE_1)
	s_or_b32 exec_lo, exec_lo, s24
	s_mov_b32 s24, 0
	global_store_b8 v[4:5], v6, off
.LBB6_707:
	s_and_b32 vcc_lo, exec_lo, s24
	s_cbranch_vccz .LBB6_717
; %bb.708:
	s_wait_xcnt 0x0
	s_delay_alu instid0(VALU_DEP_4) | instskip(SKIP_1) | instid1(VALU_DEP_1)
	v_cvt_f32_f64_e32 v2, v[0:1]
	s_mov_b32 s24, exec_lo
                                        ; implicit-def: $vgpr3
	v_and_b32_e32 v6, 0x7fffffff, v2
	s_delay_alu instid0(VALU_DEP_1)
	v_cmpx_gt_u32_e32 0x43f00000, v6
	s_xor_b32 s24, exec_lo, s24
	s_cbranch_execz .LBB6_714
; %bb.709:
	s_mov_b32 s25, exec_lo
                                        ; implicit-def: $vgpr3
	v_cmpx_lt_u32_e32 0x3c7fffff, v6
	s_xor_b32 s25, exec_lo, s25
; %bb.710:
	v_bfe_u32 v3, v2, 20, 1
	s_delay_alu instid0(VALU_DEP_1) | instskip(NEXT) | instid1(VALU_DEP_1)
	v_add3_u32 v3, v2, v3, 0x407ffff
	v_and_b32_e32 v6, 0xff00000, v3
	v_lshrrev_b32_e32 v3, 20, v3
	s_delay_alu instid0(VALU_DEP_2) | instskip(NEXT) | instid1(VALU_DEP_2)
	v_cmp_ne_u32_e32 vcc_lo, 0x7f00000, v6
	v_cndmask_b32_e32 v3, 0x7e, v3, vcc_lo
; %bb.711:
	s_and_not1_saveexec_b32 s25, s25
; %bb.712:
	v_add_f32_e64 v3, 0x46800000, |v2|
; %bb.713:
	s_or_b32 exec_lo, exec_lo, s25
                                        ; implicit-def: $vgpr6
.LBB6_714:
	s_and_not1_saveexec_b32 s24, s24
; %bb.715:
	v_mov_b32_e32 v3, 0x7f
	v_cmp_lt_u32_e32 vcc_lo, 0x7f800000, v6
	s_delay_alu instid0(VALU_DEP_2)
	v_cndmask_b32_e32 v3, 0x7e, v3, vcc_lo
; %bb.716:
	s_or_b32 exec_lo, exec_lo, s24
	v_lshrrev_b32_e32 v2, 24, v2
	s_delay_alu instid0(VALU_DEP_1)
	v_and_or_b32 v2, 0x80, v2, v3
	global_store_b8 v[4:5], v2, off
.LBB6_717:
	s_mov_b32 s24, 0
.LBB6_718:
	s_delay_alu instid0(SALU_CYCLE_1)
	s_and_not1_b32 vcc_lo, exec_lo, s24
	s_cbranch_vccnz .LBB6_728
; %bb.719:
	s_wait_xcnt 0x0
	s_delay_alu instid0(VALU_DEP_4) | instskip(SKIP_1) | instid1(VALU_DEP_1)
	v_cvt_f32_f64_e32 v2, v[0:1]
	s_mov_b32 s24, exec_lo
                                        ; implicit-def: $vgpr3
	v_and_b32_e32 v6, 0x7fffffff, v2
	s_delay_alu instid0(VALU_DEP_1)
	v_cmpx_gt_u32_e32 0x47800000, v6
	s_xor_b32 s24, exec_lo, s24
	s_cbranch_execz .LBB6_725
; %bb.720:
	s_mov_b32 s25, exec_lo
                                        ; implicit-def: $vgpr3
	v_cmpx_lt_u32_e32 0x387fffff, v6
	s_xor_b32 s25, exec_lo, s25
; %bb.721:
	v_bfe_u32 v3, v2, 21, 1
	s_delay_alu instid0(VALU_DEP_1) | instskip(NEXT) | instid1(VALU_DEP_1)
	v_add3_u32 v3, v2, v3, 0x80fffff
	v_lshrrev_b32_e32 v3, 21, v3
; %bb.722:
	s_and_not1_saveexec_b32 s25, s25
; %bb.723:
	v_add_f32_e64 v3, 0x43000000, |v2|
; %bb.724:
	s_or_b32 exec_lo, exec_lo, s25
                                        ; implicit-def: $vgpr6
.LBB6_725:
	s_and_not1_saveexec_b32 s24, s24
; %bb.726:
	v_mov_b32_e32 v3, 0x7f
	v_cmp_lt_u32_e32 vcc_lo, 0x7f800000, v6
	s_delay_alu instid0(VALU_DEP_2)
	v_cndmask_b32_e32 v3, 0x7c, v3, vcc_lo
; %bb.727:
	s_or_b32 exec_lo, exec_lo, s24
	v_lshrrev_b32_e32 v2, 24, v2
	s_delay_alu instid0(VALU_DEP_1)
	v_and_or_b32 v2, 0x80, v2, v3
	global_store_b8 v[4:5], v2, off
.LBB6_728:
	s_mov_b32 s25, 0
	s_mov_b32 s24, -1
.LBB6_729:
	s_and_not1_b32 vcc_lo, exec_lo, s25
	s_cbranch_vccnz .LBB6_737
; %bb.730:
	s_cmp_gt_i32 s23, 14
	s_mov_b32 s25, -1
	s_cbranch_scc0 .LBB6_734
; %bb.731:
	s_cmp_eq_u32 s23, 15
	s_mov_b32 s0, -1
	s_cbranch_scc0 .LBB6_733
; %bb.732:
	s_wait_xcnt 0x0
	s_delay_alu instid0(VALU_DEP_4) | instskip(SKIP_2) | instid1(VALU_DEP_1)
	v_cvt_f32_f64_e32 v2, v[0:1]
	s_mov_b32 s24, -1
	s_mov_b32 s0, 0
	v_bfe_u32 v3, v2, 16, 1
	v_cmp_o_f32_e32 vcc_lo, v2, v2
	s_delay_alu instid0(VALU_DEP_2) | instskip(NEXT) | instid1(VALU_DEP_1)
	v_add3_u32 v3, v2, v3, 0x7fff
	v_lshrrev_b32_e32 v3, 16, v3
	s_delay_alu instid0(VALU_DEP_1)
	v_cndmask_b32_e32 v2, 0x7fc0, v3, vcc_lo
	global_store_b16 v[4:5], v2, off
.LBB6_733:
	s_mov_b32 s25, 0
.LBB6_734:
	s_delay_alu instid0(SALU_CYCLE_1)
	s_and_b32 vcc_lo, exec_lo, s25
	s_cbranch_vccz .LBB6_737
; %bb.735:
	s_cmp_eq_u32 s23, 11
	s_mov_b32 s0, -1
	s_cbranch_scc0 .LBB6_737
; %bb.736:
	s_delay_alu instid0(VALU_DEP_4)
	v_cmp_neq_f64_e32 vcc_lo, 0, v[0:1]
	s_mov_b32 s24, -1
	s_mov_b32 s0, 0
	s_wait_xcnt 0x0
	v_cndmask_b32_e64 v2, 0, 1, vcc_lo
	global_store_b8 v[4:5], v2, off
.LBB6_737:
	s_mov_b32 s23, 0
.LBB6_738:
	s_delay_alu instid0(SALU_CYCLE_1)
	s_and_b32 vcc_lo, exec_lo, s23
	s_cbranch_vccz .LBB6_777
; %bb.739:
	s_and_b32 s22, 0xffff, s22
	s_mov_b32 s23, -1
	s_cmp_lt_i32 s22, 5
	s_cbranch_scc1 .LBB6_760
; %bb.740:
	s_cmp_lt_i32 s22, 8
	s_cbranch_scc1 .LBB6_750
; %bb.741:
	;; [unrolled: 3-line block ×3, first 2 shown]
	s_cmp_gt_i32 s22, 9
	s_cbranch_scc0 .LBB6_744
; %bb.743:
	s_wait_xcnt 0x0
	v_mov_b32_e32 v2, 0
	s_mov_b32 s23, 0
	s_delay_alu instid0(VALU_DEP_1)
	v_mov_b32_e32 v3, v2
	global_store_b128 v[4:5], v[0:3], off
.LBB6_744:
	s_and_not1_b32 vcc_lo, exec_lo, s23
	s_cbranch_vccnz .LBB6_746
; %bb.745:
	s_wait_xcnt 0x0
	s_delay_alu instid0(VALU_DEP_4)
	v_cvt_f32_f64_e32 v2, v[0:1]
	v_mov_b32_e32 v3, 0
	global_store_b64 v[4:5], v[2:3], off
.LBB6_746:
	s_mov_b32 s23, 0
.LBB6_747:
	s_delay_alu instid0(SALU_CYCLE_1)
	s_and_not1_b32 vcc_lo, exec_lo, s23
	s_cbranch_vccnz .LBB6_749
; %bb.748:
	s_wait_xcnt 0x0
	s_delay_alu instid0(VALU_DEP_4) | instskip(SKIP_2) | instid1(VALU_DEP_3)
	v_and_or_b32 v2, 0x1ff, v1, v0
	v_lshrrev_b32_e32 v3, 8, v1
	v_bfe_u32 v6, v1, 20, 11
	v_cmp_ne_u32_e32 vcc_lo, 0, v2
	s_delay_alu instid0(VALU_DEP_2) | instskip(SKIP_1) | instid1(VALU_DEP_1)
	v_sub_nc_u32_e32 v7, 0x3f1, v6
	v_cndmask_b32_e64 v2, 0, 1, vcc_lo
	v_and_or_b32 v2, 0xffe, v3, v2
	s_delay_alu instid0(VALU_DEP_3) | instskip(NEXT) | instid1(VALU_DEP_2)
	v_med3_i32 v3, v7, 0, 13
	v_or_b32_e32 v7, 0x1000, v2
	s_delay_alu instid0(VALU_DEP_1) | instskip(NEXT) | instid1(VALU_DEP_1)
	v_lshrrev_b32_e32 v8, v3, v7
	v_lshlrev_b32_e32 v3, v3, v8
	s_delay_alu instid0(VALU_DEP_1) | instskip(SKIP_1) | instid1(VALU_DEP_1)
	v_cmp_ne_u32_e32 vcc_lo, v3, v7
	v_cndmask_b32_e64 v3, 0, 1, vcc_lo
	v_or_b32_e32 v3, v8, v3
	v_add_nc_u32_e32 v6, 0xfffffc10, v6
	s_delay_alu instid0(VALU_DEP_1) | instskip(SKIP_1) | instid1(VALU_DEP_2)
	v_lshl_or_b32 v7, v6, 12, v2
	v_cmp_gt_i32_e32 vcc_lo, 1, v6
	v_cndmask_b32_e32 v3, v7, v3, vcc_lo
	s_delay_alu instid0(VALU_DEP_1) | instskip(NEXT) | instid1(VALU_DEP_1)
	v_dual_lshrrev_b32 v3, 2, v3 :: v_dual_bitop2_b32 v7, 7, v3 bitop3:0x40
	v_cmp_lt_i32_e32 vcc_lo, 5, v7
	v_cndmask_b32_e64 v8, 0, 1, vcc_lo
	v_cmp_eq_u32_e32 vcc_lo, 3, v7
	v_cndmask_b32_e64 v7, 0, 1, vcc_lo
	v_cmp_ne_u32_e32 vcc_lo, 0, v2
	s_delay_alu instid0(VALU_DEP_2) | instskip(NEXT) | instid1(VALU_DEP_1)
	v_or_b32_e32 v7, v7, v8
	v_dual_mov_b32 v8, 0x7e00 :: v_dual_add_nc_u32 v3, v3, v7
	s_delay_alu instid0(VALU_DEP_1) | instskip(SKIP_2) | instid1(VALU_DEP_4)
	v_cndmask_b32_e32 v2, 0x7c00, v8, vcc_lo
	v_cmp_gt_i32_e32 vcc_lo, 31, v6
	v_lshrrev_b32_e32 v7, 16, v1
	v_cndmask_b32_e32 v3, 0x7c00, v3, vcc_lo
	v_cmp_eq_u32_e32 vcc_lo, 0x40f, v6
	s_delay_alu instid0(VALU_DEP_2) | instskip(NEXT) | instid1(VALU_DEP_4)
	v_cndmask_b32_e32 v2, v3, v2, vcc_lo
	v_and_b32_e32 v3, 0x8000, v7
	s_delay_alu instid0(VALU_DEP_1)
	v_bitop3_b32 v2, v3, 0xffff, v2 bitop3:0xc8
	global_store_b32 v[4:5], v2, off
.LBB6_749:
	s_mov_b32 s23, 0
.LBB6_750:
	s_delay_alu instid0(SALU_CYCLE_1)
	s_and_not1_b32 vcc_lo, exec_lo, s23
	s_cbranch_vccnz .LBB6_759
; %bb.751:
	s_cmp_lt_i32 s22, 6
	s_mov_b32 s23, -1
	s_cbranch_scc1 .LBB6_757
; %bb.752:
	s_cmp_gt_i32 s22, 6
	s_cbranch_scc0 .LBB6_754
; %bb.753:
	s_mov_b32 s23, 0
	global_store_b64 v[4:5], v[0:1], off
.LBB6_754:
	s_and_not1_b32 vcc_lo, exec_lo, s23
	s_cbranch_vccnz .LBB6_756
; %bb.755:
	s_wait_xcnt 0x0
	s_delay_alu instid0(VALU_DEP_4)
	v_cvt_f32_f64_e32 v2, v[0:1]
	global_store_b32 v[4:5], v2, off
.LBB6_756:
	s_mov_b32 s23, 0
.LBB6_757:
	s_delay_alu instid0(SALU_CYCLE_1)
	s_and_not1_b32 vcc_lo, exec_lo, s23
	s_cbranch_vccnz .LBB6_759
; %bb.758:
	s_wait_xcnt 0x0
	s_delay_alu instid0(VALU_DEP_4) | instskip(SKIP_2) | instid1(VALU_DEP_3)
	v_and_or_b32 v2, 0x1ff, v1, v0
	v_lshrrev_b32_e32 v3, 8, v1
	v_bfe_u32 v6, v1, 20, 11
	v_cmp_ne_u32_e32 vcc_lo, 0, v2
	s_delay_alu instid0(VALU_DEP_2) | instskip(SKIP_1) | instid1(VALU_DEP_1)
	v_sub_nc_u32_e32 v7, 0x3f1, v6
	v_cndmask_b32_e64 v2, 0, 1, vcc_lo
	v_and_or_b32 v2, 0xffe, v3, v2
	s_delay_alu instid0(VALU_DEP_3) | instskip(NEXT) | instid1(VALU_DEP_2)
	v_med3_i32 v3, v7, 0, 13
	v_or_b32_e32 v7, 0x1000, v2
	s_delay_alu instid0(VALU_DEP_1) | instskip(NEXT) | instid1(VALU_DEP_1)
	v_lshrrev_b32_e32 v8, v3, v7
	v_lshlrev_b32_e32 v3, v3, v8
	s_delay_alu instid0(VALU_DEP_1) | instskip(SKIP_1) | instid1(VALU_DEP_1)
	v_cmp_ne_u32_e32 vcc_lo, v3, v7
	v_cndmask_b32_e64 v3, 0, 1, vcc_lo
	v_or_b32_e32 v3, v8, v3
	v_add_nc_u32_e32 v6, 0xfffffc10, v6
	s_delay_alu instid0(VALU_DEP_1) | instskip(SKIP_1) | instid1(VALU_DEP_2)
	v_lshl_or_b32 v7, v6, 12, v2
	v_cmp_gt_i32_e32 vcc_lo, 1, v6
	v_cndmask_b32_e32 v3, v7, v3, vcc_lo
	s_delay_alu instid0(VALU_DEP_1) | instskip(NEXT) | instid1(VALU_DEP_1)
	v_dual_lshrrev_b32 v3, 2, v3 :: v_dual_bitop2_b32 v7, 7, v3 bitop3:0x40
	v_cmp_lt_i32_e32 vcc_lo, 5, v7
	v_cndmask_b32_e64 v8, 0, 1, vcc_lo
	v_cmp_eq_u32_e32 vcc_lo, 3, v7
	v_cndmask_b32_e64 v7, 0, 1, vcc_lo
	v_cmp_ne_u32_e32 vcc_lo, 0, v2
	s_delay_alu instid0(VALU_DEP_2) | instskip(NEXT) | instid1(VALU_DEP_1)
	v_or_b32_e32 v7, v7, v8
	v_dual_mov_b32 v8, 0x7e00 :: v_dual_add_nc_u32 v3, v3, v7
	s_delay_alu instid0(VALU_DEP_1) | instskip(SKIP_1) | instid1(VALU_DEP_3)
	v_cndmask_b32_e32 v2, 0x7c00, v8, vcc_lo
	v_cmp_gt_i32_e32 vcc_lo, 31, v6
	v_cndmask_b32_e32 v3, 0x7c00, v3, vcc_lo
	v_cmp_eq_u32_e32 vcc_lo, 0x40f, v6
	s_delay_alu instid0(VALU_DEP_2) | instskip(NEXT) | instid1(VALU_DEP_1)
	v_dual_cndmask_b32 v2, v3, v2 :: v_dual_lshrrev_b32 v3, 16, v1
	v_and_or_b32 v2, 0x8000, v3, v2
	global_store_b16 v[4:5], v2, off
.LBB6_759:
	s_mov_b32 s23, 0
.LBB6_760:
	s_delay_alu instid0(SALU_CYCLE_1)
	s_and_not1_b32 vcc_lo, exec_lo, s23
	s_cbranch_vccnz .LBB6_776
; %bb.761:
	s_cmp_lt_i32 s22, 2
	s_mov_b32 s23, -1
	s_cbranch_scc1 .LBB6_771
; %bb.762:
	s_cmp_lt_i32 s22, 3
	s_cbranch_scc1 .LBB6_768
; %bb.763:
	s_cmp_gt_i32 s22, 3
	s_cbranch_scc0 .LBB6_765
; %bb.764:
	s_wait_xcnt 0x0
	s_delay_alu instid0(VALU_DEP_4) | instskip(SKIP_1) | instid1(VALU_DEP_1)
	v_trunc_f64_e32 v[2:3], v[0:1]
	s_mov_b32 s23, 0
	v_ldexp_f64 v[6:7], v[2:3], 0xffffffe0
	s_delay_alu instid0(VALU_DEP_1) | instskip(NEXT) | instid1(VALU_DEP_1)
	v_floor_f64_e32 v[6:7], v[6:7]
	v_fmamk_f64 v[2:3], v[6:7], 0xc1f00000, v[2:3]
	v_cvt_i32_f64_e32 v7, v[6:7]
	s_delay_alu instid0(VALU_DEP_2)
	v_cvt_u32_f64_e32 v6, v[2:3]
	global_store_b64 v[4:5], v[6:7], off
.LBB6_765:
	s_and_not1_b32 vcc_lo, exec_lo, s23
	s_cbranch_vccnz .LBB6_767
; %bb.766:
	s_wait_xcnt 0x0
	s_delay_alu instid0(VALU_DEP_4)
	v_cvt_i32_f64_e32 v2, v[0:1]
	global_store_b32 v[4:5], v2, off
.LBB6_767:
	s_mov_b32 s23, 0
.LBB6_768:
	s_delay_alu instid0(SALU_CYCLE_1)
	s_and_not1_b32 vcc_lo, exec_lo, s23
	s_cbranch_vccnz .LBB6_770
; %bb.769:
	s_wait_xcnt 0x0
	s_delay_alu instid0(VALU_DEP_4)
	v_cvt_i32_f64_e32 v2, v[0:1]
	global_store_b16 v[4:5], v2, off
.LBB6_770:
	s_mov_b32 s23, 0
.LBB6_771:
	s_delay_alu instid0(SALU_CYCLE_1)
	s_and_not1_b32 vcc_lo, exec_lo, s23
	s_cbranch_vccnz .LBB6_776
; %bb.772:
	s_cmp_gt_i32 s22, 0
	s_mov_b32 s22, -1
	s_cbranch_scc0 .LBB6_774
; %bb.773:
	s_wait_xcnt 0x0
	s_delay_alu instid0(VALU_DEP_4)
	v_cvt_i32_f64_e32 v2, v[0:1]
	s_mov_b32 s22, 0
	global_store_b8 v[4:5], v2, off
.LBB6_774:
	s_and_not1_b32 vcc_lo, exec_lo, s22
	s_cbranch_vccnz .LBB6_776
; %bb.775:
	s_wait_xcnt 0x0
	s_delay_alu instid0(VALU_DEP_4) | instskip(NEXT) | instid1(VALU_DEP_1)
	v_trunc_f64_e32 v[0:1], v[0:1]
	v_ldexp_f64 v[2:3], v[0:1], 0xffffffe0
	s_delay_alu instid0(VALU_DEP_1) | instskip(NEXT) | instid1(VALU_DEP_1)
	v_floor_f64_e32 v[2:3], v[2:3]
	v_fmamk_f64 v[0:1], v[2:3], 0xc1f00000, v[0:1]
	s_delay_alu instid0(VALU_DEP_1)
	v_cvt_u32_f64_e32 v0, v[0:1]
	global_store_b8 v[4:5], v0, off
.LBB6_776:
	s_mov_b32 s24, -1
.LBB6_777:
	s_delay_alu instid0(SALU_CYCLE_1)
	s_and_not1_b32 vcc_lo, exec_lo, s24
	s_cbranch_vccnz .LBB6_779
; %bb.778:
	v_add_nc_u32_e32 v10, 0x80, v10
	s_mov_b32 s22, -1
	s_branch .LBB6_781
.LBB6_779:
	s_mov_b32 s22, 0
.LBB6_780:
                                        ; implicit-def: $vgpr10
.LBB6_781:
	s_and_not1_b32 s23, s18, exec_lo
	s_and_b32 s0, s0, exec_lo
	s_and_not1_b32 s24, s17, exec_lo
	s_and_b32 s25, s21, exec_lo
	s_or_b32 s21, s23, s0
	s_or_b32 s0, s24, s25
	s_or_not1_b32 s22, s22, exec_lo
.LBB6_782:
	s_wait_xcnt 0x0
	s_or_b32 exec_lo, exec_lo, s20
	s_mov_b32 s23, 0
	s_mov_b32 s24, 0
	;; [unrolled: 1-line block ×3, first 2 shown]
                                        ; implicit-def: $vgpr0_vgpr1
                                        ; implicit-def: $vgpr2_vgpr3
	s_and_saveexec_b32 s20, s22
	s_cbranch_execz .LBB6_867
; %bb.783:
	v_cmp_gt_i32_e32 vcc_lo, s14, v10
	s_mov_b32 s22, 0
	s_mov_b32 s23, s0
	;; [unrolled: 1-line block ×3, first 2 shown]
                                        ; implicit-def: $vgpr0_vgpr1
                                        ; implicit-def: $vgpr2_vgpr3
	s_and_saveexec_b32 s14, vcc_lo
	s_cbranch_execz .LBB6_866
; %bb.784:
	v_mul_lo_u32 v0, v10, s9
	s_and_b32 s22, 0xffff, s3
	s_delay_alu instid0(SALU_CYCLE_1) | instskip(NEXT) | instid1(VALU_DEP_1)
	s_cmp_lt_i32 s22, 11
	v_ashrrev_i32_e32 v1, 31, v0
	s_delay_alu instid0(VALU_DEP_1)
	v_add_nc_u64_e32 v[0:1], s[6:7], v[0:1]
	s_cbranch_scc1 .LBB6_791
; %bb.785:
	s_cmp_gt_i32 s22, 25
	s_cbranch_scc0 .LBB6_792
; %bb.786:
	s_cmp_gt_i32 s22, 28
	s_cbranch_scc0 .LBB6_793
	;; [unrolled: 3-line block ×4, first 2 shown]
; %bb.789:
	s_cmp_eq_u32 s22, 46
	s_cbranch_scc0 .LBB6_800
; %bb.790:
	s_wait_loadcnt 0x0
	global_load_b32 v2, v[0:1], off
	s_mov_b32 s23, 0
	s_mov_b32 s25, -1
	s_wait_loadcnt 0x0
	v_lshlrev_b32_e32 v2, 16, v2
	s_delay_alu instid0(VALU_DEP_1)
	v_cvt_f64_f32_e32 v[2:3], v2
	s_branch .LBB6_802
.LBB6_791:
	s_mov_b32 s22, -1
	s_mov_b32 s23, s0
                                        ; implicit-def: $vgpr2_vgpr3
	s_branch .LBB6_865
.LBB6_792:
	s_mov_b32 s26, -1
	s_mov_b32 s23, s0
                                        ; implicit-def: $vgpr2_vgpr3
	s_branch .LBB6_831
.LBB6_793:
	s_mov_b32 s26, -1
	s_mov_b32 s23, s0
                                        ; implicit-def: $vgpr2_vgpr3
	s_branch .LBB6_812
.LBB6_794:
	s_mov_b32 s26, -1
	s_mov_b32 s23, s0
                                        ; implicit-def: $vgpr2_vgpr3
	s_branch .LBB6_807
.LBB6_795:
	s_and_not1_saveexec_b32 s26, s26
	s_cbranch_execz .LBB6_690
.LBB6_796:
	v_add_f32_e64 v3, 0x46000000, |v2|
	s_and_not1_b32 s25, s25, exec_lo
	s_delay_alu instid0(VALU_DEP_1) | instskip(NEXT) | instid1(VALU_DEP_1)
	v_and_b32_e32 v3, 0xff, v3
	v_cmp_ne_u32_e32 vcc_lo, 0, v3
	s_and_b32 s27, vcc_lo, exec_lo
	s_delay_alu instid0(SALU_CYCLE_1)
	s_or_b32 s25, s25, s27
	s_or_b32 exec_lo, exec_lo, s26
	v_mov_b32_e32 v6, 0
	s_and_saveexec_b32 s26, s25
	s_cbranch_execnz .LBB6_691
	s_branch .LBB6_692
.LBB6_797:
	s_mov_b32 s26, -1
	s_mov_b32 s23, s0
	s_branch .LBB6_801
.LBB6_798:
	s_and_not1_saveexec_b32 s26, s26
	s_cbranch_execz .LBB6_703
.LBB6_799:
	v_add_f32_e64 v3, 0x42800000, |v2|
	s_and_not1_b32 s25, s25, exec_lo
	s_delay_alu instid0(VALU_DEP_1) | instskip(NEXT) | instid1(VALU_DEP_1)
	v_and_b32_e32 v3, 0xff, v3
	v_cmp_ne_u32_e32 vcc_lo, 0, v3
	s_and_b32 s27, vcc_lo, exec_lo
	s_delay_alu instid0(SALU_CYCLE_1)
	s_or_b32 s25, s25, s27
	s_or_b32 exec_lo, exec_lo, s26
	v_mov_b32_e32 v6, 0
	s_and_saveexec_b32 s26, s25
	s_cbranch_execnz .LBB6_704
	s_branch .LBB6_705
.LBB6_800:
	s_mov_b32 s23, -1
.LBB6_801:
                                        ; implicit-def: $vgpr2_vgpr3
.LBB6_802:
	s_and_b32 vcc_lo, exec_lo, s26
	s_cbranch_vccz .LBB6_806
; %bb.803:
	s_cmp_eq_u32 s22, 44
	s_cbranch_scc0 .LBB6_805
; %bb.804:
	global_load_u8 v4, v[0:1], off
	s_mov_b32 s23, 0
	s_mov_b32 s25, -1
	s_wait_loadcnt 0x0
	v_cmp_ne_u32_e32 vcc_lo, 0xff, v4
	v_lshlrev_b32_e32 v2, 23, v4
	s_delay_alu instid0(VALU_DEP_1) | instskip(NEXT) | instid1(VALU_DEP_1)
	v_cvt_f64_f32_e32 v[2:3], v2
	v_cndmask_b32_e32 v2, 0x20000000, v2, vcc_lo
	s_delay_alu instid0(VALU_DEP_2) | instskip(SKIP_1) | instid1(VALU_DEP_2)
	v_cndmask_b32_e32 v3, 0x7ff80000, v3, vcc_lo
	v_cmp_ne_u32_e32 vcc_lo, 0, v4
	v_cndmask_b32_e32 v3, 0x38000000, v3, vcc_lo
	s_delay_alu instid0(VALU_DEP_4)
	v_cndmask_b32_e32 v2, 0, v2, vcc_lo
	s_branch .LBB6_806
.LBB6_805:
	s_mov_b32 s23, -1
                                        ; implicit-def: $vgpr2_vgpr3
.LBB6_806:
	s_mov_b32 s26, 0
.LBB6_807:
	s_delay_alu instid0(SALU_CYCLE_1)
	s_and_b32 vcc_lo, exec_lo, s26
	s_cbranch_vccz .LBB6_811
; %bb.808:
	s_cmp_eq_u32 s22, 29
	s_cbranch_scc0 .LBB6_810
; %bb.809:
	s_wait_loadcnt 0x0
	global_load_b64 v[2:3], v[0:1], off
	s_mov_b32 s23, 0
	s_mov_b32 s25, -1
	s_mov_b32 s26, 0
	s_wait_loadcnt 0x0
	v_cvt_f64_u32_e32 v[4:5], v3
	v_cvt_f64_u32_e32 v[2:3], v2
	s_delay_alu instid0(VALU_DEP_2) | instskip(NEXT) | instid1(VALU_DEP_1)
	v_ldexp_f64 v[4:5], v[4:5], 32
	v_add_f64_e32 v[2:3], v[4:5], v[2:3]
	s_branch .LBB6_812
.LBB6_810:
	s_mov_b32 s23, -1
                                        ; implicit-def: $vgpr2_vgpr3
.LBB6_811:
	s_mov_b32 s26, 0
.LBB6_812:
	s_delay_alu instid0(SALU_CYCLE_1)
	s_and_b32 vcc_lo, exec_lo, s26
	s_cbranch_vccz .LBB6_830
; %bb.813:
	s_cmp_lt_i32 s22, 27
	s_cbranch_scc1 .LBB6_816
; %bb.814:
	s_cmp_gt_i32 s22, 27
	s_cbranch_scc0 .LBB6_817
; %bb.815:
	s_wait_loadcnt 0x0
	global_load_b32 v2, v[0:1], off
	s_mov_b32 s25, 0
	s_wait_loadcnt 0x0
	v_cvt_f64_u32_e32 v[2:3], v2
	s_branch .LBB6_818
.LBB6_816:
	s_mov_b32 s25, -1
                                        ; implicit-def: $vgpr2_vgpr3
	s_branch .LBB6_821
.LBB6_817:
	s_mov_b32 s25, -1
                                        ; implicit-def: $vgpr2_vgpr3
.LBB6_818:
	s_delay_alu instid0(SALU_CYCLE_1)
	s_and_not1_b32 vcc_lo, exec_lo, s25
	s_cbranch_vccnz .LBB6_820
; %bb.819:
	s_wait_loadcnt 0x0
	global_load_u16 v2, v[0:1], off
	s_wait_loadcnt 0x0
	v_cvt_f64_u32_e32 v[2:3], v2
.LBB6_820:
	s_mov_b32 s25, 0
.LBB6_821:
	s_delay_alu instid0(SALU_CYCLE_1)
	s_and_not1_b32 vcc_lo, exec_lo, s25
	s_cbranch_vccnz .LBB6_829
; %bb.822:
	global_load_u8 v4, v[0:1], off
	s_mov_b32 s25, 0
	s_mov_b32 s26, exec_lo
	s_wait_loadcnt 0x0
	v_cmpx_lt_i16_e32 0x7f, v4
	s_xor_b32 s26, exec_lo, s26
	s_cbranch_execz .LBB6_843
; %bb.823:
	s_mov_b32 s25, -1
	s_mov_b32 s27, exec_lo
	v_cmpx_eq_u16_e32 0x80, v4
; %bb.824:
	s_xor_b32 s25, exec_lo, -1
; %bb.825:
	s_or_b32 exec_lo, exec_lo, s27
	s_delay_alu instid0(SALU_CYCLE_1)
	s_and_b32 s25, s25, exec_lo
	s_or_saveexec_b32 s26, s26
	v_mov_b64_e32 v[2:3], 0x7ff8000020000000
	s_xor_b32 exec_lo, exec_lo, s26
	s_cbranch_execnz .LBB6_844
.LBB6_826:
	s_or_b32 exec_lo, exec_lo, s26
	s_and_saveexec_b32 s26, s25
	s_cbranch_execz .LBB6_828
.LBB6_827:
	v_and_b32_e32 v2, 0xffff, v4
	s_delay_alu instid0(VALU_DEP_1) | instskip(SKIP_1) | instid1(VALU_DEP_2)
	v_and_b32_e32 v3, 7, v2
	v_bfe_u32 v7, v2, 3, 4
	v_clz_i32_u32_e32 v5, v3
	s_delay_alu instid0(VALU_DEP_2) | instskip(NEXT) | instid1(VALU_DEP_2)
	v_cmp_eq_u32_e32 vcc_lo, 0, v7
	v_min_u32_e32 v5, 32, v5
	s_delay_alu instid0(VALU_DEP_1) | instskip(NEXT) | instid1(VALU_DEP_1)
	v_subrev_nc_u32_e32 v6, 28, v5
	v_dual_lshlrev_b32 v2, v6, v2 :: v_dual_sub_nc_u32 v5, 29, v5
	s_delay_alu instid0(VALU_DEP_1) | instskip(NEXT) | instid1(VALU_DEP_2)
	v_dual_lshlrev_b32 v4, 24, v4 :: v_dual_bitop2_b32 v2, 7, v2 bitop3:0x40
	v_cndmask_b32_e32 v5, v7, v5, vcc_lo
	s_delay_alu instid0(VALU_DEP_2) | instskip(NEXT) | instid1(VALU_DEP_3)
	v_cndmask_b32_e32 v2, v3, v2, vcc_lo
	v_and_b32_e32 v3, 0x80000000, v4
	s_delay_alu instid0(VALU_DEP_3) | instskip(NEXT) | instid1(VALU_DEP_3)
	v_lshl_add_u32 v4, v5, 23, 0x3b800000
	v_lshlrev_b32_e32 v2, 20, v2
	s_delay_alu instid0(VALU_DEP_1) | instskip(NEXT) | instid1(VALU_DEP_1)
	v_or3_b32 v2, v3, v4, v2
	v_cvt_f64_f32_e32 v[2:3], v2
.LBB6_828:
	s_or_b32 exec_lo, exec_lo, s26
.LBB6_829:
	s_mov_b32 s25, -1
.LBB6_830:
	s_mov_b32 s26, 0
.LBB6_831:
	s_delay_alu instid0(SALU_CYCLE_1)
	s_and_b32 vcc_lo, exec_lo, s26
	s_cbranch_vccz .LBB6_864
; %bb.832:
	s_cmp_gt_i32 s22, 22
	s_cbranch_scc0 .LBB6_842
; %bb.833:
	s_cmp_lt_i32 s22, 24
	s_cbranch_scc1 .LBB6_845
; %bb.834:
	s_cmp_gt_i32 s22, 24
	s_cbranch_scc0 .LBB6_846
; %bb.835:
	global_load_u8 v4, v[0:1], off
	s_mov_b32 s25, exec_lo
	s_wait_loadcnt 0x0
	v_cmpx_lt_i16_e32 0x7f, v4
	s_xor_b32 s25, exec_lo, s25
	s_cbranch_execz .LBB6_858
; %bb.836:
	s_mov_b32 s24, -1
	s_mov_b32 s26, exec_lo
	v_cmpx_eq_u16_e32 0x80, v4
; %bb.837:
	s_xor_b32 s24, exec_lo, -1
; %bb.838:
	s_or_b32 exec_lo, exec_lo, s26
	s_delay_alu instid0(SALU_CYCLE_1)
	s_and_b32 s24, s24, exec_lo
	s_or_saveexec_b32 s25, s25
	v_mov_b64_e32 v[2:3], 0x7ff8000020000000
	s_xor_b32 exec_lo, exec_lo, s25
	s_cbranch_execnz .LBB6_859
.LBB6_839:
	s_or_b32 exec_lo, exec_lo, s25
	s_and_saveexec_b32 s25, s24
	s_cbranch_execz .LBB6_841
.LBB6_840:
	v_and_b32_e32 v2, 0xffff, v4
	s_delay_alu instid0(VALU_DEP_1) | instskip(SKIP_1) | instid1(VALU_DEP_2)
	v_and_b32_e32 v3, 3, v2
	v_bfe_u32 v7, v2, 2, 5
	v_clz_i32_u32_e32 v5, v3
	s_delay_alu instid0(VALU_DEP_2) | instskip(NEXT) | instid1(VALU_DEP_2)
	v_cmp_eq_u32_e32 vcc_lo, 0, v7
	v_min_u32_e32 v5, 32, v5
	s_delay_alu instid0(VALU_DEP_1) | instskip(NEXT) | instid1(VALU_DEP_1)
	v_subrev_nc_u32_e32 v6, 29, v5
	v_dual_lshlrev_b32 v2, v6, v2 :: v_dual_sub_nc_u32 v5, 30, v5
	s_delay_alu instid0(VALU_DEP_1) | instskip(NEXT) | instid1(VALU_DEP_2)
	v_dual_lshlrev_b32 v4, 24, v4 :: v_dual_bitop2_b32 v2, 3, v2 bitop3:0x40
	v_cndmask_b32_e32 v5, v7, v5, vcc_lo
	s_delay_alu instid0(VALU_DEP_2) | instskip(NEXT) | instid1(VALU_DEP_3)
	v_cndmask_b32_e32 v2, v3, v2, vcc_lo
	v_and_b32_e32 v3, 0x80000000, v4
	s_delay_alu instid0(VALU_DEP_3) | instskip(NEXT) | instid1(VALU_DEP_3)
	v_lshl_add_u32 v4, v5, 23, 0x37800000
	v_lshlrev_b32_e32 v2, 21, v2
	s_delay_alu instid0(VALU_DEP_1) | instskip(NEXT) | instid1(VALU_DEP_1)
	v_or3_b32 v2, v3, v4, v2
	v_cvt_f64_f32_e32 v[2:3], v2
.LBB6_841:
	s_or_b32 exec_lo, exec_lo, s25
	s_mov_b32 s24, 0
	s_branch .LBB6_847
.LBB6_842:
	s_mov_b32 s24, -1
                                        ; implicit-def: $vgpr2_vgpr3
	s_branch .LBB6_853
.LBB6_843:
	s_or_saveexec_b32 s26, s26
	v_mov_b64_e32 v[2:3], 0x7ff8000020000000
	s_xor_b32 exec_lo, exec_lo, s26
	s_cbranch_execz .LBB6_826
.LBB6_844:
	v_cmp_ne_u16_e32 vcc_lo, 0, v4
	v_mov_b64_e32 v[2:3], 0
	s_and_not1_b32 s25, s25, exec_lo
	s_and_b32 s27, vcc_lo, exec_lo
	s_delay_alu instid0(SALU_CYCLE_1)
	s_or_b32 s25, s25, s27
	s_or_b32 exec_lo, exec_lo, s26
	s_and_saveexec_b32 s26, s25
	s_cbranch_execnz .LBB6_827
	s_branch .LBB6_828
.LBB6_845:
	s_mov_b32 s24, -1
                                        ; implicit-def: $vgpr2_vgpr3
	s_branch .LBB6_850
.LBB6_846:
	s_mov_b32 s24, -1
                                        ; implicit-def: $vgpr2_vgpr3
.LBB6_847:
	s_delay_alu instid0(SALU_CYCLE_1)
	s_and_b32 vcc_lo, exec_lo, s24
	s_cbranch_vccz .LBB6_849
; %bb.848:
	s_wait_loadcnt 0x0
	global_load_u8 v2, v[0:1], off
	s_wait_loadcnt 0x0
	v_lshlrev_b32_e32 v2, 24, v2
	s_delay_alu instid0(VALU_DEP_1) | instskip(NEXT) | instid1(VALU_DEP_1)
	v_and_b32_e32 v3, 0x7f000000, v2
	v_clz_i32_u32_e32 v4, v3
	v_cmp_ne_u32_e32 vcc_lo, 0, v3
	v_add_nc_u32_e32 v6, 0x1000000, v3
	s_delay_alu instid0(VALU_DEP_3) | instskip(NEXT) | instid1(VALU_DEP_1)
	v_min_u32_e32 v4, 32, v4
	v_sub_nc_u32_e64 v4, v4, 4 clamp
	s_delay_alu instid0(VALU_DEP_1) | instskip(NEXT) | instid1(VALU_DEP_1)
	v_dual_lshlrev_b32 v5, v4, v3 :: v_dual_lshlrev_b32 v4, 23, v4
	v_lshrrev_b32_e32 v5, 4, v5
	s_delay_alu instid0(VALU_DEP_1) | instskip(NEXT) | instid1(VALU_DEP_1)
	v_dual_sub_nc_u32 v4, v5, v4 :: v_dual_ashrrev_i32 v5, 8, v6
	v_add_nc_u32_e32 v4, 0x3c000000, v4
	s_delay_alu instid0(VALU_DEP_1) | instskip(NEXT) | instid1(VALU_DEP_1)
	v_and_or_b32 v4, 0x7f800000, v5, v4
	v_cndmask_b32_e32 v3, 0, v4, vcc_lo
	s_delay_alu instid0(VALU_DEP_1) | instskip(NEXT) | instid1(VALU_DEP_1)
	v_and_or_b32 v2, 0x80000000, v2, v3
	v_cvt_f64_f32_e32 v[2:3], v2
.LBB6_849:
	s_mov_b32 s24, 0
.LBB6_850:
	s_delay_alu instid0(SALU_CYCLE_1)
	s_and_not1_b32 vcc_lo, exec_lo, s24
	s_cbranch_vccnz .LBB6_852
; %bb.851:
	s_wait_loadcnt 0x0
	global_load_u8 v2, v[0:1], off
	s_wait_loadcnt 0x0
	v_lshlrev_b32_e32 v3, 25, v2
	v_lshlrev_b16 v2, 8, v2
	s_delay_alu instid0(VALU_DEP_1) | instskip(SKIP_1) | instid1(VALU_DEP_2)
	v_and_or_b32 v5, 0x7f00, v2, 0.5
	v_bfe_i32 v2, v2, 0, 16
	v_dual_add_f32 v5, -0.5, v5 :: v_dual_lshrrev_b32 v4, 4, v3
	v_cmp_gt_u32_e32 vcc_lo, 0x8000000, v3
	s_delay_alu instid0(VALU_DEP_2) | instskip(NEXT) | instid1(VALU_DEP_1)
	v_or_b32_e32 v4, 0x70000000, v4
	v_mul_f32_e32 v4, 0x7800000, v4
	s_delay_alu instid0(VALU_DEP_1) | instskip(NEXT) | instid1(VALU_DEP_1)
	v_cndmask_b32_e32 v3, v4, v5, vcc_lo
	v_and_or_b32 v2, 0x80000000, v2, v3
	s_delay_alu instid0(VALU_DEP_1)
	v_cvt_f64_f32_e32 v[2:3], v2
.LBB6_852:
	s_mov_b32 s24, 0
	s_mov_b32 s25, -1
.LBB6_853:
	s_and_not1_b32 vcc_lo, exec_lo, s24
	s_mov_b32 s24, 0
	s_cbranch_vccnz .LBB6_864
; %bb.854:
	s_cmp_gt_i32 s22, 14
	s_cbranch_scc0 .LBB6_857
; %bb.855:
	s_cmp_eq_u32 s22, 15
	s_cbranch_scc0 .LBB6_860
; %bb.856:
	s_wait_loadcnt 0x0
	global_load_u16 v2, v[0:1], off
	s_mov_b32 s23, 0
	s_mov_b32 s25, -1
	s_wait_loadcnt 0x0
	v_lshlrev_b32_e32 v2, 16, v2
	s_delay_alu instid0(VALU_DEP_1)
	v_cvt_f64_f32_e32 v[2:3], v2
	s_branch .LBB6_862
.LBB6_857:
	s_mov_b32 s24, -1
	s_branch .LBB6_861
.LBB6_858:
	s_or_saveexec_b32 s25, s25
	v_mov_b64_e32 v[2:3], 0x7ff8000020000000
	s_xor_b32 exec_lo, exec_lo, s25
	s_cbranch_execz .LBB6_839
.LBB6_859:
	v_cmp_ne_u16_e32 vcc_lo, 0, v4
	v_mov_b64_e32 v[2:3], 0
	s_and_not1_b32 s24, s24, exec_lo
	s_and_b32 s26, vcc_lo, exec_lo
	s_delay_alu instid0(SALU_CYCLE_1)
	s_or_b32 s24, s24, s26
	s_or_b32 exec_lo, exec_lo, s25
	s_and_saveexec_b32 s25, s24
	s_cbranch_execnz .LBB6_840
	s_branch .LBB6_841
.LBB6_860:
	s_mov_b32 s23, -1
.LBB6_861:
                                        ; implicit-def: $vgpr2_vgpr3
.LBB6_862:
	s_and_b32 vcc_lo, exec_lo, s24
	s_mov_b32 s24, 0
	s_cbranch_vccz .LBB6_864
; %bb.863:
	s_cmp_lg_u32 s22, 11
	s_mov_b32 s24, -1
	s_cselect_b32 s22, -1, 0
	s_and_not1_b32 s23, s23, exec_lo
	s_and_b32 s22, s22, exec_lo
	s_delay_alu instid0(SALU_CYCLE_1)
	s_or_b32 s23, s23, s22
.LBB6_864:
	s_mov_b32 s22, 0
.LBB6_865:
	s_and_not1_b32 s27, s0, exec_lo
	s_and_b32 s23, s23, exec_lo
	s_and_b32 s25, s25, exec_lo
	;; [unrolled: 1-line block ×4, first 2 shown]
	s_or_b32 s23, s27, s23
.LBB6_866:
	s_wait_xcnt 0x0
	s_or_b32 exec_lo, exec_lo, s14
	s_delay_alu instid0(SALU_CYCLE_1)
	s_and_not1_b32 s0, s0, exec_lo
	s_and_b32 s14, s23, exec_lo
	s_and_b32 s25, s25, exec_lo
	;; [unrolled: 1-line block ×4, first 2 shown]
	s_or_b32 s0, s0, s14
.LBB6_867:
	s_or_b32 exec_lo, exec_lo, s20
	s_delay_alu instid0(SALU_CYCLE_1)
	s_and_not1_b32 s14, s18, exec_lo
	s_and_b32 s18, s21, exec_lo
	s_and_b32 s0, s0, exec_lo
	s_or_b32 s18, s14, s18
	s_and_not1_b32 s14, s17, exec_lo
	s_and_b32 s22, s25, exec_lo
	s_and_b32 s21, s24, exec_lo
	s_and_b32 s20, s23, exec_lo
	s_or_b32 s17, s14, s0
.LBB6_868:
	s_or_b32 exec_lo, exec_lo, s19
	s_delay_alu instid0(SALU_CYCLE_1)
	s_and_not1_b32 s0, s13, exec_lo
	s_and_b32 s13, s18, exec_lo
	s_and_not1_b32 s14, s15, exec_lo
	s_and_b32 s15, s17, exec_lo
	s_or_b32 s13, s0, s13
	s_and_b32 s0, s22, exec_lo
	s_and_b32 s18, s21, exec_lo
	;; [unrolled: 1-line block ×3, first 2 shown]
	s_or_b32 s15, s14, s15
	s_or_b32 exec_lo, exec_lo, s16
	s_mov_b32 s14, 0
	s_and_saveexec_b32 s16, s15
	s_cbranch_execz .LBB6_264
.LBB6_869:
	s_mov_b32 s14, exec_lo
	s_and_not1_b32 s17, s17, exec_lo
	s_trap 2
	s_or_b32 exec_lo, exec_lo, s16
	s_and_saveexec_b32 s15, s17
	s_delay_alu instid0(SALU_CYCLE_1)
	s_xor_b32 s15, exec_lo, s15
	s_cbranch_execnz .LBB6_265
.LBB6_870:
	s_or_b32 exec_lo, exec_lo, s15
	s_and_saveexec_b32 s15, s18
	s_cbranch_execz .LBB6_916
.LBB6_871:
	s_sext_i32_i16 s16, s3
	s_delay_alu instid0(SALU_CYCLE_1)
	s_cmp_lt_i32 s16, 5
	s_cbranch_scc1 .LBB6_876
; %bb.872:
	s_cmp_lt_i32 s16, 8
	s_cbranch_scc1 .LBB6_877
; %bb.873:
	;; [unrolled: 3-line block ×3, first 2 shown]
	s_cmp_gt_i32 s16, 9
	s_cbranch_scc0 .LBB6_879
; %bb.875:
	s_wait_loadcnt 0x0
	global_load_b64 v[2:3], v[0:1], off
	s_mov_b32 s16, 0
	s_branch .LBB6_880
.LBB6_876:
                                        ; implicit-def: $vgpr2_vgpr3
	s_branch .LBB6_897
.LBB6_877:
                                        ; implicit-def: $vgpr2_vgpr3
	s_branch .LBB6_886
.LBB6_878:
	s_mov_b32 s16, -1
                                        ; implicit-def: $vgpr2_vgpr3
	s_branch .LBB6_883
.LBB6_879:
	s_mov_b32 s16, -1
                                        ; implicit-def: $vgpr2_vgpr3
.LBB6_880:
	s_delay_alu instid0(SALU_CYCLE_1)
	s_and_not1_b32 vcc_lo, exec_lo, s16
	s_cbranch_vccnz .LBB6_882
; %bb.881:
	s_wait_loadcnt 0x0
	global_load_b32 v2, v[0:1], off
	s_wait_loadcnt 0x0
	v_cvt_f64_f32_e32 v[2:3], v2
.LBB6_882:
	s_mov_b32 s16, 0
.LBB6_883:
	s_delay_alu instid0(SALU_CYCLE_1)
	s_and_not1_b32 vcc_lo, exec_lo, s16
	s_cbranch_vccnz .LBB6_885
; %bb.884:
	s_wait_loadcnt 0x0
	global_load_b32 v2, v[0:1], off
	s_wait_loadcnt 0x0
	v_cvt_f32_f16_e32 v2, v2
	s_delay_alu instid0(VALU_DEP_1)
	v_cvt_f64_f32_e32 v[2:3], v2
.LBB6_885:
	s_cbranch_execnz .LBB6_896
.LBB6_886:
	s_sext_i32_i16 s16, s3
	s_delay_alu instid0(SALU_CYCLE_1)
	s_cmp_lt_i32 s16, 6
	s_cbranch_scc1 .LBB6_889
; %bb.887:
	s_cmp_gt_i32 s16, 6
	s_cbranch_scc0 .LBB6_890
; %bb.888:
	s_wait_loadcnt 0x0
	global_load_b64 v[2:3], v[0:1], off
	s_mov_b32 s16, 0
	s_branch .LBB6_891
.LBB6_889:
	s_mov_b32 s16, -1
                                        ; implicit-def: $vgpr2_vgpr3
	s_branch .LBB6_894
.LBB6_890:
	s_mov_b32 s16, -1
                                        ; implicit-def: $vgpr2_vgpr3
.LBB6_891:
	s_delay_alu instid0(SALU_CYCLE_1)
	s_and_not1_b32 vcc_lo, exec_lo, s16
	s_cbranch_vccnz .LBB6_893
; %bb.892:
	s_wait_loadcnt 0x0
	global_load_b32 v2, v[0:1], off
	s_wait_loadcnt 0x0
	v_cvt_f64_f32_e32 v[2:3], v2
.LBB6_893:
	s_mov_b32 s16, 0
.LBB6_894:
	s_delay_alu instid0(SALU_CYCLE_1)
	s_and_not1_b32 vcc_lo, exec_lo, s16
	s_cbranch_vccnz .LBB6_896
; %bb.895:
	s_wait_loadcnt 0x0
	global_load_u16 v2, v[0:1], off
	s_wait_loadcnt 0x0
	v_cvt_f32_f16_e32 v2, v2
	s_delay_alu instid0(VALU_DEP_1)
	v_cvt_f64_f32_e32 v[2:3], v2
.LBB6_896:
	s_cbranch_execnz .LBB6_915
.LBB6_897:
	s_sext_i32_i16 s16, s3
	s_delay_alu instid0(SALU_CYCLE_1)
	s_cmp_lt_i32 s16, 2
	s_cbranch_scc1 .LBB6_901
; %bb.898:
	s_cmp_lt_i32 s16, 3
	s_cbranch_scc1 .LBB6_902
; %bb.899:
	s_cmp_gt_i32 s16, 3
	s_cbranch_scc0 .LBB6_903
; %bb.900:
	s_wait_loadcnt 0x0
	global_load_b64 v[2:3], v[0:1], off
	s_mov_b32 s16, 0
	s_wait_loadcnt 0x0
	v_cvt_f64_i32_e32 v[4:5], v3
	v_cvt_f64_u32_e32 v[2:3], v2
	s_delay_alu instid0(VALU_DEP_2) | instskip(NEXT) | instid1(VALU_DEP_1)
	v_ldexp_f64 v[4:5], v[4:5], 32
	v_add_f64_e32 v[2:3], v[4:5], v[2:3]
	s_branch .LBB6_904
.LBB6_901:
                                        ; implicit-def: $vgpr2_vgpr3
	s_branch .LBB6_910
.LBB6_902:
	s_mov_b32 s16, -1
                                        ; implicit-def: $vgpr2_vgpr3
	s_branch .LBB6_907
.LBB6_903:
	s_mov_b32 s16, -1
                                        ; implicit-def: $vgpr2_vgpr3
.LBB6_904:
	s_delay_alu instid0(SALU_CYCLE_1)
	s_and_not1_b32 vcc_lo, exec_lo, s16
	s_cbranch_vccnz .LBB6_906
; %bb.905:
	s_wait_loadcnt 0x0
	global_load_b32 v2, v[0:1], off
	s_wait_loadcnt 0x0
	v_cvt_f64_i32_e32 v[2:3], v2
.LBB6_906:
	s_mov_b32 s16, 0
.LBB6_907:
	s_delay_alu instid0(SALU_CYCLE_1)
	s_and_not1_b32 vcc_lo, exec_lo, s16
	s_cbranch_vccnz .LBB6_909
; %bb.908:
	s_wait_loadcnt 0x0
	global_load_i16 v2, v[0:1], off
	s_wait_loadcnt 0x0
	v_cvt_f64_i32_e32 v[2:3], v2
.LBB6_909:
	s_cbranch_execnz .LBB6_915
.LBB6_910:
	s_sext_i32_i16 s16, s3
	s_delay_alu instid0(SALU_CYCLE_1)
	s_cmp_gt_i32 s16, 0
	s_mov_b32 s16, 0
	s_cbranch_scc0 .LBB6_912
; %bb.911:
	s_wait_loadcnt 0x0
	global_load_i8 v2, v[0:1], off
	s_wait_loadcnt 0x0
	v_cvt_f64_i32_e32 v[2:3], v2
	s_branch .LBB6_913
.LBB6_912:
	s_mov_b32 s16, -1
                                        ; implicit-def: $vgpr2_vgpr3
.LBB6_913:
	s_delay_alu instid0(SALU_CYCLE_1)
	s_and_not1_b32 vcc_lo, exec_lo, s16
	s_cbranch_vccnz .LBB6_915
; %bb.914:
	global_load_u8 v0, v[0:1], off
	s_wait_loadcnt 0x0
	v_cvt_f64_u32_e32 v[2:3], v0
.LBB6_915:
	s_or_b32 s0, s0, exec_lo
.LBB6_916:
	s_wait_xcnt 0x0
	s_or_b32 exec_lo, exec_lo, s15
	s_mov_b32 s18, 0
	s_mov_b32 s17, 0
                                        ; implicit-def: $sgpr15
                                        ; implicit-def: $vgpr4_vgpr5
                                        ; implicit-def: $vgpr0_vgpr1
	s_and_saveexec_b32 s16, s0
	s_cbranch_execz .LBB6_926
; %bb.917:
	v_mov_b64_e32 v[0:1], 1.0
	s_mov_b32 s0, exec_lo
	s_wait_loadcnt 0x0
	s_delay_alu instid0(VALU_DEP_2)
	v_cmpx_lt_f64_e32 s[10:11], v[2:3]
	s_cbranch_execz .LBB6_919
; %bb.918:
	v_add_f64_e32 v[0:1], 0x3e7ad7f29abcaf48, v[2:3]
	s_delay_alu instid0(VALU_DEP_1) | instskip(NEXT) | instid1(VALU_DEP_1)
	v_div_scale_f64 v[2:3], null, v[0:1], v[0:1], s[10:11]
	v_rcp_f64_e32 v[4:5], v[2:3]
	v_nop
	s_delay_alu instid0(TRANS32_DEP_1) | instskip(NEXT) | instid1(VALU_DEP_1)
	v_fma_f64 v[6:7], -v[2:3], v[4:5], 1.0
	v_fmac_f64_e32 v[4:5], v[4:5], v[6:7]
	s_delay_alu instid0(VALU_DEP_1) | instskip(NEXT) | instid1(VALU_DEP_1)
	v_fma_f64 v[6:7], -v[2:3], v[4:5], 1.0
	v_fmac_f64_e32 v[4:5], v[4:5], v[6:7]
	v_div_scale_f64 v[6:7], vcc_lo, s[10:11], v[0:1], s[10:11]
	s_delay_alu instid0(VALU_DEP_1) | instskip(NEXT) | instid1(VALU_DEP_1)
	v_mul_f64_e32 v[8:9], v[6:7], v[4:5]
	v_fma_f64 v[2:3], -v[2:3], v[8:9], v[6:7]
	s_delay_alu instid0(VALU_DEP_1) | instskip(NEXT) | instid1(VALU_DEP_1)
	v_div_fmas_f64 v[2:3], v[2:3], v[4:5], v[8:9]
	v_div_fixup_f64 v[0:1], v[2:3], v[0:1], s[10:11]
.LBB6_919:
	s_or_b32 exec_lo, exec_lo, s0
	v_mul_lo_u32 v2, v10, s8
	s_and_b32 s15, s2, 0xff
	s_delay_alu instid0(SALU_CYCLE_1) | instskip(NEXT) | instid1(VALU_DEP_1)
	s_cmp_lt_i32 s15, 11
	v_ashrrev_i32_e32 v3, 31, v2
	s_delay_alu instid0(VALU_DEP_1)
	v_add_nc_u64_e32 v[4:5], s[4:5], v[2:3]
	s_cbranch_scc1 .LBB6_929
; %bb.920:
	s_and_b32 s17, 0xffff, s15
	s_mov_b32 s18, -1
	s_cmp_gt_i32 s17, 25
	s_mov_b32 s0, s13
	s_cbranch_scc0 .LBB6_957
; %bb.921:
	s_cmp_gt_i32 s17, 28
	s_mov_b32 s0, s13
	s_cbranch_scc0 .LBB6_941
; %bb.922:
	s_cmp_gt_i32 s17, 43
	s_mov_b32 s0, s13
	s_cbranch_scc0 .LBB6_937
; %bb.923:
	s_cmp_gt_i32 s17, 45
	s_mov_b32 s0, s13
	s_cbranch_scc0 .LBB6_931
; %bb.924:
	s_cmp_eq_u32 s17, 46
	s_mov_b32 s0, -1
	s_cbranch_scc0 .LBB6_930
; %bb.925:
	s_delay_alu instid0(VALU_DEP_4) | instskip(SKIP_2) | instid1(VALU_DEP_1)
	v_cvt_f32_f64_e32 v2, v[0:1]
	s_mov_b32 s0, 0
	s_mov_b32 s18, 0
	v_bfe_u32 v3, v2, 16, 1
	v_cmp_o_f32_e32 vcc_lo, v2, v2
	s_delay_alu instid0(VALU_DEP_2) | instskip(NEXT) | instid1(VALU_DEP_1)
	v_add3_u32 v3, v2, v3, 0x7fff
	v_lshrrev_b32_e32 v3, 16, v3
	s_delay_alu instid0(VALU_DEP_1)
	v_cndmask_b32_e32 v2, 0x7fc0, v3, vcc_lo
	global_store_b32 v[4:5], v2, off
	s_branch .LBB6_931
.LBB6_926:
	s_or_b32 exec_lo, exec_lo, s16
	s_and_saveexec_b32 s0, s13
	s_cbranch_execnz .LBB6_999
.LBB6_927:
	s_or_b32 exec_lo, exec_lo, s0
	s_and_saveexec_b32 s0, s18
	s_delay_alu instid0(SALU_CYCLE_1)
	s_xor_b32 s0, exec_lo, s0
	s_cbranch_execz .LBB6_1000
.LBB6_928:
	s_delay_alu instid0(VALU_DEP_4)
	v_cmp_neq_f64_e32 vcc_lo, 0, v[0:1]
	s_wait_loadcnt 0x0
	v_cndmask_b32_e64 v2, 0, 1, vcc_lo
	global_store_b8 v[4:5], v2, off
	s_wait_xcnt 0x0
	s_or_b32 exec_lo, exec_lo, s0
	s_and_saveexec_b32 s0, s17
	s_delay_alu instid0(SALU_CYCLE_1)
	s_xor_b32 s0, exec_lo, s0
	s_cbranch_execz .LBB6_1038
	s_branch .LBB6_1001
.LBB6_929:
	s_mov_b32 s19, 0
	s_mov_b32 s18, -1
	s_mov_b32 s0, s13
	s_branch .LBB6_998
.LBB6_930:
	s_mov_b32 s18, 0
.LBB6_931:
	s_delay_alu instid0(SALU_CYCLE_1)
	s_and_b32 vcc_lo, exec_lo, s18
	s_cbranch_vccz .LBB6_936
; %bb.932:
	s_cmp_eq_u32 s17, 44
	s_mov_b32 s0, -1
	s_cbranch_scc0 .LBB6_936
; %bb.933:
	s_wait_xcnt 0x0
	s_delay_alu instid0(VALU_DEP_4) | instskip(SKIP_2) | instid1(VALU_DEP_2)
	v_cvt_f32_f64_e32 v2, v[0:1]
	v_mov_b32_e32 v3, 0xff
	s_mov_b32 s18, exec_lo
	v_bfe_u32 v6, v2, 23, 8
	s_delay_alu instid0(VALU_DEP_1)
	v_cmpx_ne_u32_e32 0xff, v6
	s_cbranch_execz .LBB6_935
; %bb.934:
	v_and_b32_e32 v3, 0x400000, v2
	v_and_or_b32 v6, 0x3fffff, v2, v6
	v_lshrrev_b32_e32 v2, 23, v2
	s_delay_alu instid0(VALU_DEP_3) | instskip(NEXT) | instid1(VALU_DEP_3)
	v_cmp_ne_u32_e32 vcc_lo, 0, v3
	v_cmp_ne_u32_e64 s0, 0, v6
	s_and_b32 s0, vcc_lo, s0
	s_delay_alu instid0(SALU_CYCLE_1) | instskip(NEXT) | instid1(VALU_DEP_1)
	v_cndmask_b32_e64 v3, 0, 1, s0
	v_add_nc_u32_e32 v3, v2, v3
.LBB6_935:
	s_or_b32 exec_lo, exec_lo, s18
	s_mov_b32 s0, 0
	global_store_b8 v[4:5], v3, off
.LBB6_936:
	s_mov_b32 s18, 0
.LBB6_937:
	s_delay_alu instid0(SALU_CYCLE_1)
	s_and_b32 vcc_lo, exec_lo, s18
	s_cbranch_vccz .LBB6_940
; %bb.938:
	s_cmp_eq_u32 s17, 29
	s_mov_b32 s0, -1
	s_cbranch_scc0 .LBB6_940
; %bb.939:
	s_wait_xcnt 0x0
	s_delay_alu instid0(VALU_DEP_4) | instskip(SKIP_2) | instid1(VALU_DEP_1)
	v_trunc_f64_e32 v[2:3], v[0:1]
	s_mov_b32 s0, 0
	s_mov_b32 s18, 0
	v_ldexp_f64 v[6:7], v[2:3], 0xffffffe0
	s_delay_alu instid0(VALU_DEP_1) | instskip(NEXT) | instid1(VALU_DEP_1)
	v_floor_f64_e32 v[6:7], v[6:7]
	v_fmamk_f64 v[2:3], v[6:7], 0xc1f00000, v[2:3]
	v_cvt_u32_f64_e32 v7, v[6:7]
	s_delay_alu instid0(VALU_DEP_2)
	v_cvt_u32_f64_e32 v6, v[2:3]
	global_store_b64 v[4:5], v[6:7], off
	s_branch .LBB6_941
.LBB6_940:
	s_mov_b32 s18, 0
.LBB6_941:
	s_delay_alu instid0(SALU_CYCLE_1)
	s_and_b32 vcc_lo, exec_lo, s18
	s_cbranch_vccz .LBB6_956
; %bb.942:
	s_cmp_lt_i32 s17, 27
	s_mov_b32 s18, -1
	s_cbranch_scc1 .LBB6_948
; %bb.943:
	s_wait_xcnt 0x0
	s_delay_alu instid0(VALU_DEP_4)
	v_cvt_u32_f64_e32 v2, v[0:1]
	s_cmp_gt_i32 s17, 27
	s_cbranch_scc0 .LBB6_945
; %bb.944:
	s_mov_b32 s18, 0
	global_store_b32 v[4:5], v2, off
.LBB6_945:
	s_and_not1_b32 vcc_lo, exec_lo, s18
	s_cbranch_vccnz .LBB6_947
; %bb.946:
	global_store_b16 v[4:5], v2, off
.LBB6_947:
	s_mov_b32 s18, 0
.LBB6_948:
	s_delay_alu instid0(SALU_CYCLE_1)
	s_and_not1_b32 vcc_lo, exec_lo, s18
	s_cbranch_vccnz .LBB6_956
; %bb.949:
	s_wait_xcnt 0x0
	s_delay_alu instid0(VALU_DEP_4) | instskip(SKIP_2) | instid1(VALU_DEP_2)
	v_cvt_f32_f64_e32 v2, v[0:1]
	v_mov_b32_e32 v6, 0x80
	s_mov_b32 s18, exec_lo
	v_and_b32_e32 v3, 0x7fffffff, v2
	s_delay_alu instid0(VALU_DEP_1)
	v_cmpx_gt_u32_e32 0x43800000, v3
	s_cbranch_execz .LBB6_955
; %bb.950:
	v_cmp_lt_u32_e32 vcc_lo, 0x3bffffff, v3
	s_mov_b32 s19, 0
                                        ; implicit-def: $vgpr3
	s_and_saveexec_b32 s20, vcc_lo
	s_delay_alu instid0(SALU_CYCLE_1)
	s_xor_b32 s20, exec_lo, s20
	s_cbranch_execz .LBB6_1053
; %bb.951:
	v_bfe_u32 v3, v2, 20, 1
	s_mov_b32 s19, exec_lo
	s_delay_alu instid0(VALU_DEP_1) | instskip(NEXT) | instid1(VALU_DEP_1)
	v_add3_u32 v3, v2, v3, 0x487ffff
	v_lshrrev_b32_e32 v3, 20, v3
	s_and_not1_saveexec_b32 s20, s20
	s_cbranch_execnz .LBB6_1054
.LBB6_952:
	s_or_b32 exec_lo, exec_lo, s20
	v_mov_b32_e32 v6, 0
	s_and_saveexec_b32 s20, s19
.LBB6_953:
	v_lshrrev_b32_e32 v2, 24, v2
	s_delay_alu instid0(VALU_DEP_1)
	v_and_or_b32 v6, 0x80, v2, v3
.LBB6_954:
	s_or_b32 exec_lo, exec_lo, s20
.LBB6_955:
	s_delay_alu instid0(SALU_CYCLE_1)
	s_or_b32 exec_lo, exec_lo, s18
	global_store_b8 v[4:5], v6, off
.LBB6_956:
	s_mov_b32 s18, 0
.LBB6_957:
	s_delay_alu instid0(SALU_CYCLE_1)
	s_and_b32 vcc_lo, exec_lo, s18
	s_mov_b32 s18, 0
	s_cbranch_vccz .LBB6_997
; %bb.958:
	s_cmp_gt_i32 s17, 22
	s_mov_b32 s19, -1
	s_cbranch_scc0 .LBB6_990
; %bb.959:
	s_cmp_lt_i32 s17, 24
	s_cbranch_scc1 .LBB6_979
; %bb.960:
	s_cmp_gt_i32 s17, 24
	s_cbranch_scc0 .LBB6_968
; %bb.961:
	s_wait_xcnt 0x0
	s_delay_alu instid0(VALU_DEP_4) | instskip(SKIP_2) | instid1(VALU_DEP_2)
	v_cvt_f32_f64_e32 v2, v[0:1]
	v_mov_b32_e32 v6, 0x80
	s_mov_b32 s19, exec_lo
	v_and_b32_e32 v3, 0x7fffffff, v2
	s_delay_alu instid0(VALU_DEP_1)
	v_cmpx_gt_u32_e32 0x47800000, v3
	s_cbranch_execz .LBB6_967
; %bb.962:
	v_cmp_lt_u32_e32 vcc_lo, 0x37ffffff, v3
	s_mov_b32 s20, 0
                                        ; implicit-def: $vgpr3
	s_and_saveexec_b32 s21, vcc_lo
	s_delay_alu instid0(SALU_CYCLE_1)
	s_xor_b32 s21, exec_lo, s21
	s_cbranch_execz .LBB6_1181
; %bb.963:
	v_bfe_u32 v3, v2, 21, 1
	s_mov_b32 s20, exec_lo
	s_delay_alu instid0(VALU_DEP_1) | instskip(NEXT) | instid1(VALU_DEP_1)
	v_add3_u32 v3, v2, v3, 0x88fffff
	v_lshrrev_b32_e32 v3, 21, v3
	s_and_not1_saveexec_b32 s21, s21
	s_cbranch_execnz .LBB6_1182
.LBB6_964:
	s_or_b32 exec_lo, exec_lo, s21
	v_mov_b32_e32 v6, 0
	s_and_saveexec_b32 s21, s20
.LBB6_965:
	v_lshrrev_b32_e32 v2, 24, v2
	s_delay_alu instid0(VALU_DEP_1)
	v_and_or_b32 v6, 0x80, v2, v3
.LBB6_966:
	s_or_b32 exec_lo, exec_lo, s21
.LBB6_967:
	s_delay_alu instid0(SALU_CYCLE_1)
	s_or_b32 exec_lo, exec_lo, s19
	s_mov_b32 s19, 0
	global_store_b8 v[4:5], v6, off
.LBB6_968:
	s_and_b32 vcc_lo, exec_lo, s19
	s_cbranch_vccz .LBB6_978
; %bb.969:
	s_wait_xcnt 0x0
	s_delay_alu instid0(VALU_DEP_4) | instskip(SKIP_1) | instid1(VALU_DEP_1)
	v_cvt_f32_f64_e32 v2, v[0:1]
	s_mov_b32 s19, exec_lo
                                        ; implicit-def: $vgpr3
	v_and_b32_e32 v6, 0x7fffffff, v2
	s_delay_alu instid0(VALU_DEP_1)
	v_cmpx_gt_u32_e32 0x43f00000, v6
	s_xor_b32 s19, exec_lo, s19
	s_cbranch_execz .LBB6_975
; %bb.970:
	s_mov_b32 s20, exec_lo
                                        ; implicit-def: $vgpr3
	v_cmpx_lt_u32_e32 0x3c7fffff, v6
	s_xor_b32 s20, exec_lo, s20
; %bb.971:
	v_bfe_u32 v3, v2, 20, 1
	s_delay_alu instid0(VALU_DEP_1) | instskip(NEXT) | instid1(VALU_DEP_1)
	v_add3_u32 v3, v2, v3, 0x407ffff
	v_and_b32_e32 v6, 0xff00000, v3
	v_lshrrev_b32_e32 v3, 20, v3
	s_delay_alu instid0(VALU_DEP_2) | instskip(NEXT) | instid1(VALU_DEP_2)
	v_cmp_ne_u32_e32 vcc_lo, 0x7f00000, v6
	v_cndmask_b32_e32 v3, 0x7e, v3, vcc_lo
; %bb.972:
	s_and_not1_saveexec_b32 s20, s20
; %bb.973:
	v_add_f32_e64 v3, 0x46800000, |v2|
; %bb.974:
	s_or_b32 exec_lo, exec_lo, s20
                                        ; implicit-def: $vgpr6
.LBB6_975:
	s_and_not1_saveexec_b32 s19, s19
; %bb.976:
	v_mov_b32_e32 v3, 0x7f
	v_cmp_lt_u32_e32 vcc_lo, 0x7f800000, v6
	s_delay_alu instid0(VALU_DEP_2)
	v_cndmask_b32_e32 v3, 0x7e, v3, vcc_lo
; %bb.977:
	s_or_b32 exec_lo, exec_lo, s19
	v_lshrrev_b32_e32 v2, 24, v2
	s_delay_alu instid0(VALU_DEP_1)
	v_and_or_b32 v2, 0x80, v2, v3
	global_store_b8 v[4:5], v2, off
.LBB6_978:
	s_mov_b32 s19, 0
.LBB6_979:
	s_delay_alu instid0(SALU_CYCLE_1)
	s_and_not1_b32 vcc_lo, exec_lo, s19
	s_cbranch_vccnz .LBB6_989
; %bb.980:
	s_wait_xcnt 0x0
	s_delay_alu instid0(VALU_DEP_4) | instskip(SKIP_1) | instid1(VALU_DEP_1)
	v_cvt_f32_f64_e32 v2, v[0:1]
	s_mov_b32 s19, exec_lo
                                        ; implicit-def: $vgpr3
	v_and_b32_e32 v6, 0x7fffffff, v2
	s_delay_alu instid0(VALU_DEP_1)
	v_cmpx_gt_u32_e32 0x47800000, v6
	s_xor_b32 s19, exec_lo, s19
	s_cbranch_execz .LBB6_986
; %bb.981:
	s_mov_b32 s20, exec_lo
                                        ; implicit-def: $vgpr3
	v_cmpx_lt_u32_e32 0x387fffff, v6
	s_xor_b32 s20, exec_lo, s20
; %bb.982:
	v_bfe_u32 v3, v2, 21, 1
	s_delay_alu instid0(VALU_DEP_1) | instskip(NEXT) | instid1(VALU_DEP_1)
	v_add3_u32 v3, v2, v3, 0x80fffff
	v_lshrrev_b32_e32 v3, 21, v3
; %bb.983:
	s_and_not1_saveexec_b32 s20, s20
; %bb.984:
	v_add_f32_e64 v3, 0x43000000, |v2|
; %bb.985:
	s_or_b32 exec_lo, exec_lo, s20
                                        ; implicit-def: $vgpr6
.LBB6_986:
	s_and_not1_saveexec_b32 s19, s19
; %bb.987:
	v_mov_b32_e32 v3, 0x7f
	v_cmp_lt_u32_e32 vcc_lo, 0x7f800000, v6
	s_delay_alu instid0(VALU_DEP_2)
	v_cndmask_b32_e32 v3, 0x7c, v3, vcc_lo
; %bb.988:
	s_or_b32 exec_lo, exec_lo, s19
	v_lshrrev_b32_e32 v2, 24, v2
	s_delay_alu instid0(VALU_DEP_1)
	v_and_or_b32 v2, 0x80, v2, v3
	global_store_b8 v[4:5], v2, off
.LBB6_989:
	s_mov_b32 s19, 0
.LBB6_990:
	s_delay_alu instid0(SALU_CYCLE_1)
	s_and_not1_b32 vcc_lo, exec_lo, s19
	s_mov_b32 s19, 0
	s_cbranch_vccnz .LBB6_998
; %bb.991:
	s_cmp_gt_i32 s17, 14
	s_mov_b32 s19, -1
	s_cbranch_scc0 .LBB6_995
; %bb.992:
	s_cmp_eq_u32 s17, 15
	s_mov_b32 s0, -1
	s_cbranch_scc0 .LBB6_994
; %bb.993:
	s_wait_xcnt 0x0
	s_delay_alu instid0(VALU_DEP_4) | instskip(SKIP_1) | instid1(VALU_DEP_1)
	v_cvt_f32_f64_e32 v2, v[0:1]
	s_mov_b32 s0, 0
	v_bfe_u32 v3, v2, 16, 1
	v_cmp_o_f32_e32 vcc_lo, v2, v2
	s_delay_alu instid0(VALU_DEP_2) | instskip(NEXT) | instid1(VALU_DEP_1)
	v_add3_u32 v3, v2, v3, 0x7fff
	v_lshrrev_b32_e32 v3, 16, v3
	s_delay_alu instid0(VALU_DEP_1)
	v_cndmask_b32_e32 v2, 0x7fc0, v3, vcc_lo
	global_store_b16 v[4:5], v2, off
.LBB6_994:
	s_mov_b32 s19, 0
.LBB6_995:
	s_delay_alu instid0(SALU_CYCLE_1)
	s_and_b32 vcc_lo, exec_lo, s19
	s_mov_b32 s19, 0
	s_cbranch_vccz .LBB6_998
; %bb.996:
	s_cmp_lg_u32 s17, 11
	s_mov_b32 s19, -1
	s_cselect_b32 s17, -1, 0
	s_and_not1_b32 s0, s0, exec_lo
	s_and_b32 s17, s17, exec_lo
	s_delay_alu instid0(SALU_CYCLE_1)
	s_or_b32 s0, s0, s17
	s_branch .LBB6_998
.LBB6_997:
	s_mov_b32 s19, 0
.LBB6_998:
	s_and_not1_b32 s13, s13, exec_lo
	s_and_b32 s0, s0, exec_lo
	s_and_b32 s17, s18, exec_lo
	;; [unrolled: 1-line block ×3, first 2 shown]
	s_or_b32 s13, s13, s0
	s_wait_xcnt 0x0
	s_or_b32 exec_lo, exec_lo, s16
	s_and_saveexec_b32 s0, s13
	s_cbranch_execz .LBB6_927
.LBB6_999:
	s_or_b32 s14, s14, exec_lo
	s_and_not1_b32 s18, s18, exec_lo
	s_trap 2
	s_or_b32 exec_lo, exec_lo, s0
	s_and_saveexec_b32 s0, s18
	s_delay_alu instid0(SALU_CYCLE_1)
	s_xor_b32 s0, exec_lo, s0
	s_cbranch_execnz .LBB6_928
.LBB6_1000:
	s_or_b32 exec_lo, exec_lo, s0
	s_and_saveexec_b32 s0, s17
	s_delay_alu instid0(SALU_CYCLE_1)
	s_xor_b32 s0, exec_lo, s0
	s_cbranch_execz .LBB6_1038
.LBB6_1001:
	s_sext_i32_i16 s16, s15
	s_mov_b32 s13, -1
	s_cmp_lt_i32 s16, 5
	s_cbranch_scc1 .LBB6_1022
; %bb.1002:
	s_cmp_lt_i32 s16, 8
	s_cbranch_scc1 .LBB6_1012
; %bb.1003:
	;; [unrolled: 3-line block ×3, first 2 shown]
	s_cmp_gt_i32 s16, 9
	s_cbranch_scc0 .LBB6_1006
; %bb.1005:
	s_wait_loadcnt 0x0
	v_mov_b32_e32 v2, 0
	s_mov_b32 s13, 0
	s_delay_alu instid0(VALU_DEP_1)
	v_mov_b32_e32 v3, v2
	global_store_b128 v[4:5], v[0:3], off
.LBB6_1006:
	s_and_not1_b32 vcc_lo, exec_lo, s13
	s_cbranch_vccnz .LBB6_1008
; %bb.1007:
	s_wait_loadcnt 0x0
	v_cvt_f32_f64_e32 v2, v[0:1]
	v_mov_b32_e32 v3, 0
	global_store_b64 v[4:5], v[2:3], off
.LBB6_1008:
	s_mov_b32 s13, 0
.LBB6_1009:
	s_delay_alu instid0(SALU_CYCLE_1)
	s_and_not1_b32 vcc_lo, exec_lo, s13
	s_cbranch_vccnz .LBB6_1011
; %bb.1010:
	s_wait_loadcnt 0x0
	v_and_or_b32 v2, 0x1ff, v1, v0
	v_lshrrev_b32_e32 v3, 8, v1
	v_bfe_u32 v6, v1, 20, 11
	s_delay_alu instid0(VALU_DEP_3) | instskip(NEXT) | instid1(VALU_DEP_2)
	v_cmp_ne_u32_e32 vcc_lo, 0, v2
	v_sub_nc_u32_e32 v7, 0x3f1, v6
	v_cndmask_b32_e64 v2, 0, 1, vcc_lo
	s_delay_alu instid0(VALU_DEP_1) | instskip(NEXT) | instid1(VALU_DEP_3)
	v_and_or_b32 v2, 0xffe, v3, v2
	v_med3_i32 v3, v7, 0, 13
	s_delay_alu instid0(VALU_DEP_2) | instskip(NEXT) | instid1(VALU_DEP_1)
	v_or_b32_e32 v7, 0x1000, v2
	v_lshrrev_b32_e32 v8, v3, v7
	s_delay_alu instid0(VALU_DEP_1) | instskip(NEXT) | instid1(VALU_DEP_1)
	v_lshlrev_b32_e32 v3, v3, v8
	v_cmp_ne_u32_e32 vcc_lo, v3, v7
	v_cndmask_b32_e64 v3, 0, 1, vcc_lo
	s_delay_alu instid0(VALU_DEP_1) | instskip(SKIP_1) | instid1(VALU_DEP_1)
	v_or_b32_e32 v3, v8, v3
	v_add_nc_u32_e32 v6, 0xfffffc10, v6
	v_lshl_or_b32 v7, v6, 12, v2
	v_cmp_gt_i32_e32 vcc_lo, 1, v6
	s_delay_alu instid0(VALU_DEP_2) | instskip(NEXT) | instid1(VALU_DEP_1)
	v_cndmask_b32_e32 v3, v7, v3, vcc_lo
	v_dual_lshrrev_b32 v3, 2, v3 :: v_dual_bitop2_b32 v7, 7, v3 bitop3:0x40
	s_delay_alu instid0(VALU_DEP_1) | instskip(SKIP_4) | instid1(VALU_DEP_2)
	v_cmp_lt_i32_e32 vcc_lo, 5, v7
	v_cndmask_b32_e64 v8, 0, 1, vcc_lo
	v_cmp_eq_u32_e32 vcc_lo, 3, v7
	v_cndmask_b32_e64 v7, 0, 1, vcc_lo
	v_cmp_ne_u32_e32 vcc_lo, 0, v2
	v_or_b32_e32 v7, v7, v8
	s_delay_alu instid0(VALU_DEP_1) | instskip(NEXT) | instid1(VALU_DEP_1)
	v_dual_mov_b32 v8, 0x7e00 :: v_dual_add_nc_u32 v3, v3, v7
	v_cndmask_b32_e32 v2, 0x7c00, v8, vcc_lo
	v_cmp_gt_i32_e32 vcc_lo, 31, v6
	v_lshrrev_b32_e32 v7, 16, v1
	s_delay_alu instid0(VALU_DEP_4) | instskip(SKIP_1) | instid1(VALU_DEP_2)
	v_cndmask_b32_e32 v3, 0x7c00, v3, vcc_lo
	v_cmp_eq_u32_e32 vcc_lo, 0x40f, v6
	v_cndmask_b32_e32 v2, v3, v2, vcc_lo
	s_delay_alu instid0(VALU_DEP_4) | instskip(NEXT) | instid1(VALU_DEP_1)
	v_and_b32_e32 v3, 0x8000, v7
	v_bitop3_b32 v2, v3, 0xffff, v2 bitop3:0xc8
	global_store_b32 v[4:5], v2, off
.LBB6_1011:
	s_mov_b32 s13, 0
.LBB6_1012:
	s_delay_alu instid0(SALU_CYCLE_1)
	s_and_not1_b32 vcc_lo, exec_lo, s13
	s_cbranch_vccnz .LBB6_1021
; %bb.1013:
	s_sext_i32_i16 s16, s15
	s_mov_b32 s13, -1
	s_cmp_lt_i32 s16, 6
	s_cbranch_scc1 .LBB6_1019
; %bb.1014:
	s_cmp_gt_i32 s16, 6
	s_cbranch_scc0 .LBB6_1016
; %bb.1015:
	s_mov_b32 s13, 0
	global_store_b64 v[4:5], v[0:1], off
.LBB6_1016:
	s_and_not1_b32 vcc_lo, exec_lo, s13
	s_cbranch_vccnz .LBB6_1018
; %bb.1017:
	s_wait_loadcnt 0x0
	v_cvt_f32_f64_e32 v2, v[0:1]
	global_store_b32 v[4:5], v2, off
.LBB6_1018:
	s_mov_b32 s13, 0
.LBB6_1019:
	s_delay_alu instid0(SALU_CYCLE_1)
	s_and_not1_b32 vcc_lo, exec_lo, s13
	s_cbranch_vccnz .LBB6_1021
; %bb.1020:
	s_wait_loadcnt 0x0
	v_and_or_b32 v2, 0x1ff, v1, v0
	v_lshrrev_b32_e32 v3, 8, v1
	v_bfe_u32 v6, v1, 20, 11
	s_delay_alu instid0(VALU_DEP_3) | instskip(NEXT) | instid1(VALU_DEP_2)
	v_cmp_ne_u32_e32 vcc_lo, 0, v2
	v_sub_nc_u32_e32 v7, 0x3f1, v6
	v_cndmask_b32_e64 v2, 0, 1, vcc_lo
	s_delay_alu instid0(VALU_DEP_1) | instskip(NEXT) | instid1(VALU_DEP_3)
	v_and_or_b32 v2, 0xffe, v3, v2
	v_med3_i32 v3, v7, 0, 13
	s_delay_alu instid0(VALU_DEP_2) | instskip(NEXT) | instid1(VALU_DEP_1)
	v_or_b32_e32 v7, 0x1000, v2
	v_lshrrev_b32_e32 v8, v3, v7
	s_delay_alu instid0(VALU_DEP_1) | instskip(NEXT) | instid1(VALU_DEP_1)
	v_lshlrev_b32_e32 v3, v3, v8
	v_cmp_ne_u32_e32 vcc_lo, v3, v7
	v_cndmask_b32_e64 v3, 0, 1, vcc_lo
	s_delay_alu instid0(VALU_DEP_1) | instskip(SKIP_1) | instid1(VALU_DEP_1)
	v_or_b32_e32 v3, v8, v3
	v_add_nc_u32_e32 v6, 0xfffffc10, v6
	v_lshl_or_b32 v7, v6, 12, v2
	v_cmp_gt_i32_e32 vcc_lo, 1, v6
	s_delay_alu instid0(VALU_DEP_2) | instskip(NEXT) | instid1(VALU_DEP_1)
	v_cndmask_b32_e32 v3, v7, v3, vcc_lo
	v_dual_lshrrev_b32 v3, 2, v3 :: v_dual_bitop2_b32 v7, 7, v3 bitop3:0x40
	s_delay_alu instid0(VALU_DEP_1) | instskip(SKIP_4) | instid1(VALU_DEP_2)
	v_cmp_lt_i32_e32 vcc_lo, 5, v7
	v_cndmask_b32_e64 v8, 0, 1, vcc_lo
	v_cmp_eq_u32_e32 vcc_lo, 3, v7
	v_cndmask_b32_e64 v7, 0, 1, vcc_lo
	v_cmp_ne_u32_e32 vcc_lo, 0, v2
	v_or_b32_e32 v7, v7, v8
	s_delay_alu instid0(VALU_DEP_1) | instskip(NEXT) | instid1(VALU_DEP_1)
	v_dual_mov_b32 v8, 0x7e00 :: v_dual_add_nc_u32 v3, v3, v7
	v_cndmask_b32_e32 v2, 0x7c00, v8, vcc_lo
	v_cmp_gt_i32_e32 vcc_lo, 31, v6
	s_delay_alu instid0(VALU_DEP_3) | instskip(SKIP_1) | instid1(VALU_DEP_2)
	v_cndmask_b32_e32 v3, 0x7c00, v3, vcc_lo
	v_cmp_eq_u32_e32 vcc_lo, 0x40f, v6
	v_dual_cndmask_b32 v2, v3, v2 :: v_dual_lshrrev_b32 v3, 16, v1
	s_delay_alu instid0(VALU_DEP_1)
	v_and_or_b32 v2, 0x8000, v3, v2
	global_store_b16 v[4:5], v2, off
.LBB6_1021:
	s_mov_b32 s13, 0
.LBB6_1022:
	s_delay_alu instid0(SALU_CYCLE_1)
	s_and_not1_b32 vcc_lo, exec_lo, s13
	s_cbranch_vccnz .LBB6_1038
; %bb.1023:
	s_sext_i32_i16 s16, s15
	s_mov_b32 s13, -1
	s_cmp_lt_i32 s16, 2
	s_cbranch_scc1 .LBB6_1033
; %bb.1024:
	s_cmp_lt_i32 s16, 3
	s_cbranch_scc1 .LBB6_1030
; %bb.1025:
	s_cmp_gt_i32 s16, 3
	s_cbranch_scc0 .LBB6_1027
; %bb.1026:
	s_wait_loadcnt 0x0
	v_trunc_f64_e32 v[2:3], v[0:1]
	s_mov_b32 s13, 0
	s_delay_alu instid0(VALU_DEP_1) | instskip(NEXT) | instid1(VALU_DEP_1)
	v_ldexp_f64 v[6:7], v[2:3], 0xffffffe0
	v_floor_f64_e32 v[6:7], v[6:7]
	s_delay_alu instid0(VALU_DEP_1) | instskip(SKIP_1) | instid1(VALU_DEP_2)
	v_fmamk_f64 v[2:3], v[6:7], 0xc1f00000, v[2:3]
	v_cvt_i32_f64_e32 v7, v[6:7]
	v_cvt_u32_f64_e32 v6, v[2:3]
	global_store_b64 v[4:5], v[6:7], off
.LBB6_1027:
	s_and_not1_b32 vcc_lo, exec_lo, s13
	s_cbranch_vccnz .LBB6_1029
; %bb.1028:
	s_wait_loadcnt 0x0
	v_cvt_i32_f64_e32 v2, v[0:1]
	global_store_b32 v[4:5], v2, off
.LBB6_1029:
	s_mov_b32 s13, 0
.LBB6_1030:
	s_delay_alu instid0(SALU_CYCLE_1)
	s_and_not1_b32 vcc_lo, exec_lo, s13
	s_cbranch_vccnz .LBB6_1032
; %bb.1031:
	s_wait_loadcnt 0x0
	v_cvt_i32_f64_e32 v2, v[0:1]
	global_store_b16 v[4:5], v2, off
.LBB6_1032:
	s_mov_b32 s13, 0
.LBB6_1033:
	s_delay_alu instid0(SALU_CYCLE_1)
	s_and_not1_b32 vcc_lo, exec_lo, s13
	s_cbranch_vccnz .LBB6_1038
; %bb.1034:
	s_sext_i32_i16 s13, s15
	s_delay_alu instid0(SALU_CYCLE_1)
	s_cmp_gt_i32 s13, 0
	s_mov_b32 s13, -1
	s_cbranch_scc0 .LBB6_1036
; %bb.1035:
	s_wait_loadcnt 0x0
	v_cvt_i32_f64_e32 v2, v[0:1]
	s_mov_b32 s13, 0
	global_store_b8 v[4:5], v2, off
.LBB6_1036:
	s_and_not1_b32 vcc_lo, exec_lo, s13
	s_cbranch_vccnz .LBB6_1038
; %bb.1037:
	s_wait_xcnt 0x0
	v_trunc_f64_e32 v[0:1], v[0:1]
	s_wait_loadcnt 0x0
	s_delay_alu instid0(VALU_DEP_1) | instskip(NEXT) | instid1(VALU_DEP_1)
	v_ldexp_f64 v[2:3], v[0:1], 0xffffffe0
	v_floor_f64_e32 v[2:3], v[2:3]
	s_delay_alu instid0(VALU_DEP_1) | instskip(NEXT) | instid1(VALU_DEP_1)
	v_fmamk_f64 v[0:1], v[2:3], 0xc1f00000, v[0:1]
	v_cvt_u32_f64_e32 v0, v[0:1]
	global_store_b8 v[4:5], v0, off
.LBB6_1038:
	s_wait_xcnt 0x0
	s_or_b32 exec_lo, exec_lo, s0
	s_delay_alu instid0(SALU_CYCLE_1)
	s_and_b32 s13, s14, exec_lo
                                        ; implicit-def: $vgpr10
.LBB6_1039:
	s_or_saveexec_b32 s12, s12
	s_mov_b32 s0, 0
                                        ; implicit-def: $sgpr14
                                        ; implicit-def: $vgpr4_vgpr5
                                        ; implicit-def: $vgpr0_vgpr1
	s_xor_b32 exec_lo, exec_lo, s12
	s_cbranch_execz .LBB6_1644
; %bb.1040:
	v_mul_lo_u32 v0, s9, v10
	s_and_b32 s0, 0xffff, s3
	s_delay_alu instid0(SALU_CYCLE_1) | instskip(NEXT) | instid1(VALU_DEP_1)
	s_cmp_lt_i32 s0, 11
	v_ashrrev_i32_e32 v1, 31, v0
	s_wait_loadcnt 0x0
	s_delay_alu instid0(VALU_DEP_1)
	v_add_nc_u64_e32 v[2:3], s[6:7], v[0:1]
	s_cbranch_scc1 .LBB6_1047
; %bb.1041:
	s_cmp_gt_i32 s0, 25
	s_mov_b32 s3, 0
	s_cbranch_scc0 .LBB6_1049
; %bb.1042:
	s_cmp_gt_i32 s0, 28
	s_cbranch_scc0 .LBB6_1050
; %bb.1043:
	s_cmp_gt_i32 s0, 43
	s_cbranch_scc0 .LBB6_1051
; %bb.1044:
	s_cmp_gt_i32 s0, 45
	s_cbranch_scc0 .LBB6_1052
; %bb.1045:
	s_cmp_eq_u32 s0, 46
	s_mov_b32 s15, 0
	s_cbranch_scc0 .LBB6_1055
; %bb.1046:
	global_load_b32 v1, v[2:3], off
	s_mov_b32 s14, -1
	s_wait_loadcnt 0x0
	v_lshlrev_b32_e32 v1, 16, v1
	s_delay_alu instid0(VALU_DEP_1)
	v_cvt_f64_f32_e32 v[4:5], v1
	s_branch .LBB6_1057
.LBB6_1047:
	s_mov_b32 s14, 0
	s_mov_b32 s1, s13
                                        ; implicit-def: $vgpr4_vgpr5
	s_cbranch_execnz .LBB6_1120
.LBB6_1048:
	s_and_not1_b32 vcc_lo, exec_lo, s14
                                        ; implicit-def: $vgpr2_vgpr3
	s_cbranch_vccz .LBB6_1165
	s_branch .LBB6_1642
.LBB6_1049:
	s_mov_b32 s14, 0
                                        ; implicit-def: $vgpr4_vgpr5
	s_cbranch_execnz .LBB6_1085
	s_branch .LBB6_1116
.LBB6_1050:
	s_mov_b32 s15, -1
	s_mov_b32 s14, 0
                                        ; implicit-def: $vgpr4_vgpr5
	s_branch .LBB6_1066
.LBB6_1051:
	s_mov_b32 s14, 0
                                        ; implicit-def: $vgpr4_vgpr5
	s_cbranch_execnz .LBB6_1062
	s_branch .LBB6_1065
.LBB6_1052:
	s_mov_b32 s15, -1
	s_branch .LBB6_1056
.LBB6_1053:
	s_and_not1_saveexec_b32 s20, s20
	s_cbranch_execz .LBB6_952
.LBB6_1054:
	v_add_f32_e64 v3, 0x46000000, |v2|
	s_and_not1_b32 s19, s19, exec_lo
	s_delay_alu instid0(VALU_DEP_1) | instskip(NEXT) | instid1(VALU_DEP_1)
	v_and_b32_e32 v3, 0xff, v3
	v_cmp_ne_u32_e32 vcc_lo, 0, v3
	s_and_b32 s21, vcc_lo, exec_lo
	s_delay_alu instid0(SALU_CYCLE_1)
	s_or_b32 s19, s19, s21
	s_or_b32 exec_lo, exec_lo, s20
	v_mov_b32_e32 v6, 0
	s_and_saveexec_b32 s20, s19
	s_cbranch_execnz .LBB6_953
	s_branch .LBB6_954
.LBB6_1055:
	s_mov_b32 s1, -1
.LBB6_1056:
	s_mov_b32 s14, 0
                                        ; implicit-def: $vgpr4_vgpr5
.LBB6_1057:
	s_and_b32 vcc_lo, exec_lo, s15
	s_cbranch_vccz .LBB6_1060
; %bb.1058:
	s_cmp_eq_u32 s0, 44
	s_cbranch_scc0 .LBB6_1061
; %bb.1059:
	global_load_u8 v1, v[2:3], off
	s_mov_b32 s1, 0
	s_mov_b32 s14, -1
	s_wait_loadcnt 0x0
	v_lshlrev_b32_e32 v4, 23, v1
	v_cmp_ne_u32_e32 vcc_lo, 0xff, v1
	s_delay_alu instid0(VALU_DEP_2) | instskip(NEXT) | instid1(VALU_DEP_1)
	v_cvt_f64_f32_e32 v[4:5], v4
	v_cndmask_b32_e32 v4, 0x20000000, v4, vcc_lo
	s_delay_alu instid0(VALU_DEP_2) | instskip(SKIP_1) | instid1(VALU_DEP_2)
	v_cndmask_b32_e32 v5, 0x7ff80000, v5, vcc_lo
	v_cmp_ne_u32_e32 vcc_lo, 0, v1
	v_cndmask_b32_e32 v5, 0x38000000, v5, vcc_lo
	s_delay_alu instid0(VALU_DEP_4)
	v_cndmask_b32_e32 v4, 0, v4, vcc_lo
.LBB6_1060:
	s_branch .LBB6_1065
.LBB6_1061:
	s_mov_b32 s1, -1
                                        ; implicit-def: $vgpr4_vgpr5
	s_branch .LBB6_1065
.LBB6_1062:
	s_cmp_eq_u32 s0, 29
	s_cbranch_scc0 .LBB6_1064
; %bb.1063:
	global_load_b64 v[4:5], v[2:3], off
	s_mov_b32 s1, 0
	s_mov_b32 s14, -1
	s_mov_b32 s15, 0
	s_wait_loadcnt 0x0
	v_cvt_f64_u32_e32 v[6:7], v5
	v_cvt_f64_u32_e32 v[4:5], v4
	s_delay_alu instid0(VALU_DEP_2) | instskip(NEXT) | instid1(VALU_DEP_1)
	v_ldexp_f64 v[6:7], v[6:7], 32
	v_add_f64_e32 v[4:5], v[6:7], v[4:5]
	s_branch .LBB6_1066
.LBB6_1064:
	s_mov_b32 s1, -1
                                        ; implicit-def: $vgpr4_vgpr5
.LBB6_1065:
	s_mov_b32 s15, 0
.LBB6_1066:
	s_delay_alu instid0(SALU_CYCLE_1)
	s_and_b32 vcc_lo, exec_lo, s15
	s_cbranch_vccz .LBB6_1084
; %bb.1067:
	s_cmp_lt_i32 s0, 27
	s_cbranch_scc1 .LBB6_1070
; %bb.1068:
	s_cmp_gt_i32 s0, 27
	s_cbranch_scc0 .LBB6_1071
; %bb.1069:
	global_load_b32 v1, v[2:3], off
	s_mov_b32 s14, 0
	s_wait_loadcnt 0x0
	v_cvt_f64_u32_e32 v[4:5], v1
	s_branch .LBB6_1072
.LBB6_1070:
	s_mov_b32 s14, -1
                                        ; implicit-def: $vgpr4_vgpr5
	s_branch .LBB6_1075
.LBB6_1071:
	s_mov_b32 s14, -1
                                        ; implicit-def: $vgpr4_vgpr5
.LBB6_1072:
	s_delay_alu instid0(SALU_CYCLE_1)
	s_and_not1_b32 vcc_lo, exec_lo, s14
	s_cbranch_vccnz .LBB6_1074
; %bb.1073:
	global_load_u16 v1, v[2:3], off
	s_wait_loadcnt 0x0
	v_cvt_f64_u32_e32 v[4:5], v1
.LBB6_1074:
	s_mov_b32 s14, 0
.LBB6_1075:
	s_delay_alu instid0(SALU_CYCLE_1)
	s_and_not1_b32 vcc_lo, exec_lo, s14
	s_cbranch_vccnz .LBB6_1083
; %bb.1076:
	global_load_u8 v1, v[2:3], off
	s_mov_b32 s14, 0
	s_mov_b32 s15, exec_lo
	s_wait_loadcnt 0x0
	v_cmpx_lt_i16_e32 0x7f, v1
	s_xor_b32 s15, exec_lo, s15
	s_cbranch_execz .LBB6_1096
; %bb.1077:
	s_mov_b32 s14, -1
	s_mov_b32 s16, exec_lo
	v_cmpx_eq_u16_e32 0x80, v1
; %bb.1078:
	s_xor_b32 s14, exec_lo, -1
; %bb.1079:
	s_or_b32 exec_lo, exec_lo, s16
	s_delay_alu instid0(SALU_CYCLE_1)
	s_and_b32 s14, s14, exec_lo
	s_or_saveexec_b32 s15, s15
	v_mov_b64_e32 v[4:5], 0x7ff8000020000000
	s_xor_b32 exec_lo, exec_lo, s15
	s_cbranch_execnz .LBB6_1097
.LBB6_1080:
	s_or_b32 exec_lo, exec_lo, s15
	s_and_saveexec_b32 s15, s14
	s_cbranch_execz .LBB6_1082
.LBB6_1081:
	v_and_b32_e32 v4, 0xffff, v1
	s_delay_alu instid0(VALU_DEP_1) | instskip(SKIP_1) | instid1(VALU_DEP_2)
	v_and_b32_e32 v5, 7, v4
	v_bfe_u32 v8, v4, 3, 4
	v_clz_i32_u32_e32 v6, v5
	s_delay_alu instid0(VALU_DEP_2) | instskip(NEXT) | instid1(VALU_DEP_2)
	v_cmp_eq_u32_e32 vcc_lo, 0, v8
	v_min_u32_e32 v6, 32, v6
	s_delay_alu instid0(VALU_DEP_1) | instskip(NEXT) | instid1(VALU_DEP_1)
	v_subrev_nc_u32_e32 v7, 28, v6
	v_dual_lshlrev_b32 v4, v7, v4 :: v_dual_sub_nc_u32 v6, 29, v6
	s_delay_alu instid0(VALU_DEP_1) | instskip(NEXT) | instid1(VALU_DEP_1)
	v_dual_lshlrev_b32 v1, 24, v1 :: v_dual_bitop2_b32 v4, 7, v4 bitop3:0x40
	v_dual_cndmask_b32 v6, v8, v6, vcc_lo :: v_dual_cndmask_b32 v4, v5, v4, vcc_lo
	s_delay_alu instid0(VALU_DEP_2) | instskip(NEXT) | instid1(VALU_DEP_2)
	v_and_b32_e32 v1, 0x80000000, v1
	v_lshl_add_u32 v5, v6, 23, 0x3b800000
	s_delay_alu instid0(VALU_DEP_3) | instskip(NEXT) | instid1(VALU_DEP_1)
	v_lshlrev_b32_e32 v4, 20, v4
	v_or3_b32 v1, v1, v5, v4
	s_delay_alu instid0(VALU_DEP_1)
	v_cvt_f64_f32_e32 v[4:5], v1
.LBB6_1082:
	s_or_b32 exec_lo, exec_lo, s15
.LBB6_1083:
	s_mov_b32 s14, -1
.LBB6_1084:
	s_branch .LBB6_1116
.LBB6_1085:
	s_cmp_gt_i32 s0, 22
	s_cbranch_scc0 .LBB6_1095
; %bb.1086:
	s_cmp_lt_i32 s0, 24
	s_cbranch_scc1 .LBB6_1098
; %bb.1087:
	s_cmp_gt_i32 s0, 24
	s_cbranch_scc0 .LBB6_1099
; %bb.1088:
	global_load_u8 v1, v[2:3], off
	s_mov_b32 s14, exec_lo
	s_wait_loadcnt 0x0
	v_cmpx_lt_i16_e32 0x7f, v1
	s_xor_b32 s14, exec_lo, s14
	s_cbranch_execz .LBB6_1110
; %bb.1089:
	s_mov_b32 s3, -1
	s_mov_b32 s15, exec_lo
	v_cmpx_eq_u16_e32 0x80, v1
; %bb.1090:
	s_xor_b32 s3, exec_lo, -1
; %bb.1091:
	s_or_b32 exec_lo, exec_lo, s15
	s_delay_alu instid0(SALU_CYCLE_1)
	s_and_b32 s3, s3, exec_lo
	s_or_saveexec_b32 s14, s14
	v_mov_b64_e32 v[4:5], 0x7ff8000020000000
	s_xor_b32 exec_lo, exec_lo, s14
	s_cbranch_execnz .LBB6_1111
.LBB6_1092:
	s_or_b32 exec_lo, exec_lo, s14
	s_and_saveexec_b32 s14, s3
	s_cbranch_execz .LBB6_1094
.LBB6_1093:
	v_and_b32_e32 v4, 0xffff, v1
	s_delay_alu instid0(VALU_DEP_1) | instskip(SKIP_1) | instid1(VALU_DEP_2)
	v_and_b32_e32 v5, 3, v4
	v_bfe_u32 v8, v4, 2, 5
	v_clz_i32_u32_e32 v6, v5
	s_delay_alu instid0(VALU_DEP_2) | instskip(NEXT) | instid1(VALU_DEP_2)
	v_cmp_eq_u32_e32 vcc_lo, 0, v8
	v_min_u32_e32 v6, 32, v6
	s_delay_alu instid0(VALU_DEP_1) | instskip(NEXT) | instid1(VALU_DEP_1)
	v_subrev_nc_u32_e32 v7, 29, v6
	v_dual_lshlrev_b32 v4, v7, v4 :: v_dual_sub_nc_u32 v6, 30, v6
	s_delay_alu instid0(VALU_DEP_1) | instskip(NEXT) | instid1(VALU_DEP_1)
	v_dual_lshlrev_b32 v1, 24, v1 :: v_dual_bitop2_b32 v4, 3, v4 bitop3:0x40
	v_dual_cndmask_b32 v6, v8, v6, vcc_lo :: v_dual_cndmask_b32 v4, v5, v4, vcc_lo
	s_delay_alu instid0(VALU_DEP_2) | instskip(NEXT) | instid1(VALU_DEP_2)
	v_and_b32_e32 v1, 0x80000000, v1
	v_lshl_add_u32 v5, v6, 23, 0x37800000
	s_delay_alu instid0(VALU_DEP_3) | instskip(NEXT) | instid1(VALU_DEP_1)
	v_lshlrev_b32_e32 v4, 21, v4
	v_or3_b32 v1, v1, v5, v4
	s_delay_alu instid0(VALU_DEP_1)
	v_cvt_f64_f32_e32 v[4:5], v1
.LBB6_1094:
	s_or_b32 exec_lo, exec_lo, s14
	s_mov_b32 s3, 0
	s_branch .LBB6_1100
.LBB6_1095:
                                        ; implicit-def: $vgpr4_vgpr5
	s_mov_b32 s3, 0
	s_branch .LBB6_1106
.LBB6_1096:
	s_or_saveexec_b32 s15, s15
	v_mov_b64_e32 v[4:5], 0x7ff8000020000000
	s_xor_b32 exec_lo, exec_lo, s15
	s_cbranch_execz .LBB6_1080
.LBB6_1097:
	v_cmp_ne_u16_e32 vcc_lo, 0, v1
	v_mov_b64_e32 v[4:5], 0
	s_and_not1_b32 s14, s14, exec_lo
	s_and_b32 s16, vcc_lo, exec_lo
	s_delay_alu instid0(SALU_CYCLE_1)
	s_or_b32 s14, s14, s16
	s_or_b32 exec_lo, exec_lo, s15
	s_and_saveexec_b32 s15, s14
	s_cbranch_execnz .LBB6_1081
	s_branch .LBB6_1082
.LBB6_1098:
	s_mov_b32 s3, -1
                                        ; implicit-def: $vgpr4_vgpr5
	s_branch .LBB6_1103
.LBB6_1099:
	s_mov_b32 s3, -1
                                        ; implicit-def: $vgpr4_vgpr5
.LBB6_1100:
	s_delay_alu instid0(SALU_CYCLE_1)
	s_and_b32 vcc_lo, exec_lo, s3
	s_cbranch_vccz .LBB6_1102
; %bb.1101:
	global_load_u8 v1, v[2:3], off
	s_wait_loadcnt 0x0
	v_lshlrev_b32_e32 v1, 24, v1
	s_delay_alu instid0(VALU_DEP_1) | instskip(NEXT) | instid1(VALU_DEP_1)
	v_and_b32_e32 v4, 0x7f000000, v1
	v_clz_i32_u32_e32 v5, v4
	v_cmp_ne_u32_e32 vcc_lo, 0, v4
	v_add_nc_u32_e32 v7, 0x1000000, v4
	s_delay_alu instid0(VALU_DEP_3) | instskip(NEXT) | instid1(VALU_DEP_1)
	v_min_u32_e32 v5, 32, v5
	v_sub_nc_u32_e64 v5, v5, 4 clamp
	s_delay_alu instid0(VALU_DEP_1) | instskip(NEXT) | instid1(VALU_DEP_1)
	v_dual_lshlrev_b32 v6, v5, v4 :: v_dual_lshlrev_b32 v5, 23, v5
	v_lshrrev_b32_e32 v6, 4, v6
	s_delay_alu instid0(VALU_DEP_1) | instskip(NEXT) | instid1(VALU_DEP_1)
	v_dual_sub_nc_u32 v5, v6, v5 :: v_dual_ashrrev_i32 v6, 8, v7
	v_add_nc_u32_e32 v5, 0x3c000000, v5
	s_delay_alu instid0(VALU_DEP_1) | instskip(NEXT) | instid1(VALU_DEP_1)
	v_and_or_b32 v5, 0x7f800000, v6, v5
	v_cndmask_b32_e32 v4, 0, v5, vcc_lo
	s_delay_alu instid0(VALU_DEP_1) | instskip(NEXT) | instid1(VALU_DEP_1)
	v_and_or_b32 v1, 0x80000000, v1, v4
	v_cvt_f64_f32_e32 v[4:5], v1
.LBB6_1102:
	s_mov_b32 s3, 0
.LBB6_1103:
	s_delay_alu instid0(SALU_CYCLE_1)
	s_and_not1_b32 vcc_lo, exec_lo, s3
	s_cbranch_vccnz .LBB6_1105
; %bb.1104:
	global_load_u8 v1, v[2:3], off
	s_wait_loadcnt 0x0
	v_lshlrev_b32_e32 v4, 25, v1
	v_lshlrev_b16 v1, 8, v1
	s_delay_alu instid0(VALU_DEP_1) | instskip(SKIP_1) | instid1(VALU_DEP_2)
	v_and_or_b32 v6, 0x7f00, v1, 0.5
	v_bfe_i32 v1, v1, 0, 16
	v_dual_add_f32 v6, -0.5, v6 :: v_dual_lshrrev_b32 v5, 4, v4
	v_cmp_gt_u32_e32 vcc_lo, 0x8000000, v4
	s_delay_alu instid0(VALU_DEP_2) | instskip(NEXT) | instid1(VALU_DEP_1)
	v_or_b32_e32 v5, 0x70000000, v5
	v_mul_f32_e32 v5, 0x7800000, v5
	s_delay_alu instid0(VALU_DEP_1) | instskip(NEXT) | instid1(VALU_DEP_1)
	v_cndmask_b32_e32 v4, v5, v6, vcc_lo
	v_and_or_b32 v1, 0x80000000, v1, v4
	s_delay_alu instid0(VALU_DEP_1)
	v_cvt_f64_f32_e32 v[4:5], v1
.LBB6_1105:
	s_mov_b32 s14, -1
	s_mov_b32 s3, 0
	s_cbranch_execnz .LBB6_1116
.LBB6_1106:
	s_cmp_gt_i32 s0, 14
	s_cbranch_scc0 .LBB6_1109
; %bb.1107:
	s_cmp_eq_u32 s0, 15
	s_cbranch_scc0 .LBB6_1112
; %bb.1108:
	global_load_u16 v1, v[2:3], off
	s_mov_b32 s1, 0
	s_mov_b32 s14, -1
	s_wait_loadcnt 0x0
	v_lshlrev_b32_e32 v1, 16, v1
	s_delay_alu instid0(VALU_DEP_1)
	v_cvt_f64_f32_e32 v[4:5], v1
	s_branch .LBB6_1114
.LBB6_1109:
	s_mov_b32 s3, -1
	s_branch .LBB6_1113
.LBB6_1110:
	s_or_saveexec_b32 s14, s14
	v_mov_b64_e32 v[4:5], 0x7ff8000020000000
	s_xor_b32 exec_lo, exec_lo, s14
	s_cbranch_execz .LBB6_1092
.LBB6_1111:
	v_cmp_ne_u16_e32 vcc_lo, 0, v1
	v_mov_b64_e32 v[4:5], 0
	s_and_not1_b32 s3, s3, exec_lo
	s_and_b32 s15, vcc_lo, exec_lo
	s_delay_alu instid0(SALU_CYCLE_1)
	s_or_b32 s3, s3, s15
	s_or_b32 exec_lo, exec_lo, s14
	s_and_saveexec_b32 s14, s3
	s_cbranch_execnz .LBB6_1093
	s_branch .LBB6_1094
.LBB6_1112:
	s_mov_b32 s1, -1
.LBB6_1113:
                                        ; implicit-def: $vgpr4_vgpr5
.LBB6_1114:
	s_and_b32 vcc_lo, exec_lo, s3
	s_mov_b32 s3, 0
	s_cbranch_vccz .LBB6_1116
; %bb.1115:
	s_cmp_lg_u32 s0, 11
	s_mov_b32 s3, -1
	s_cselect_b32 s1, -1, 0
.LBB6_1116:
	s_delay_alu instid0(SALU_CYCLE_1)
	s_and_b32 vcc_lo, exec_lo, s1
	s_mov_b32 s1, s13
	s_cbranch_vccnz .LBB6_1179
; %bb.1117:
	s_and_not1_b32 vcc_lo, exec_lo, s3
	s_cbranch_vccnz .LBB6_1119
.LBB6_1118:
	global_load_u8 v1, v[2:3], off
	v_mov_b32_e32 v4, 0
	s_mov_b32 s14, -1
	s_wait_loadcnt 0x0
	v_cmp_ne_u16_e32 vcc_lo, 0, v1
	v_cndmask_b32_e64 v5, 0, 0x3ff00000, vcc_lo
.LBB6_1119:
	s_branch .LBB6_1048
.LBB6_1120:
	s_cmp_lt_i32 s0, 5
	s_cbranch_scc1 .LBB6_1125
; %bb.1121:
	s_cmp_lt_i32 s0, 8
	s_cbranch_scc1 .LBB6_1126
; %bb.1122:
	;; [unrolled: 3-line block ×3, first 2 shown]
	s_cmp_gt_i32 s0, 9
	s_cbranch_scc0 .LBB6_1128
; %bb.1124:
	global_load_b64 v[4:5], v[2:3], off
	s_mov_b32 s3, 0
	s_branch .LBB6_1129
.LBB6_1125:
                                        ; implicit-def: $vgpr4_vgpr5
	s_branch .LBB6_1146
.LBB6_1126:
                                        ; implicit-def: $vgpr4_vgpr5
	s_branch .LBB6_1135
.LBB6_1127:
	s_mov_b32 s3, -1
                                        ; implicit-def: $vgpr4_vgpr5
	s_branch .LBB6_1132
.LBB6_1128:
	s_mov_b32 s3, -1
                                        ; implicit-def: $vgpr4_vgpr5
.LBB6_1129:
	s_delay_alu instid0(SALU_CYCLE_1)
	s_and_not1_b32 vcc_lo, exec_lo, s3
	s_cbranch_vccnz .LBB6_1131
; %bb.1130:
	global_load_b32 v1, v[2:3], off
	s_wait_loadcnt 0x0
	v_cvt_f64_f32_e32 v[4:5], v1
.LBB6_1131:
	s_mov_b32 s3, 0
.LBB6_1132:
	s_delay_alu instid0(SALU_CYCLE_1)
	s_and_not1_b32 vcc_lo, exec_lo, s3
	s_cbranch_vccnz .LBB6_1134
; %bb.1133:
	global_load_b32 v1, v[2:3], off
	s_wait_loadcnt 0x0
	v_cvt_f32_f16_e32 v1, v1
	s_delay_alu instid0(VALU_DEP_1)
	v_cvt_f64_f32_e32 v[4:5], v1
.LBB6_1134:
	s_cbranch_execnz .LBB6_1145
.LBB6_1135:
	s_cmp_lt_i32 s0, 6
	s_cbranch_scc1 .LBB6_1138
; %bb.1136:
	s_cmp_gt_i32 s0, 6
	s_cbranch_scc0 .LBB6_1139
; %bb.1137:
	s_wait_loadcnt 0x0
	global_load_b64 v[4:5], v[2:3], off
	s_mov_b32 s3, 0
	s_branch .LBB6_1140
.LBB6_1138:
	s_mov_b32 s3, -1
                                        ; implicit-def: $vgpr4_vgpr5
	s_branch .LBB6_1143
.LBB6_1139:
	s_mov_b32 s3, -1
                                        ; implicit-def: $vgpr4_vgpr5
.LBB6_1140:
	s_delay_alu instid0(SALU_CYCLE_1)
	s_and_not1_b32 vcc_lo, exec_lo, s3
	s_cbranch_vccnz .LBB6_1142
; %bb.1141:
	global_load_b32 v1, v[2:3], off
	s_wait_loadcnt 0x0
	v_cvt_f64_f32_e32 v[4:5], v1
.LBB6_1142:
	s_mov_b32 s3, 0
.LBB6_1143:
	s_delay_alu instid0(SALU_CYCLE_1)
	s_and_not1_b32 vcc_lo, exec_lo, s3
	s_cbranch_vccnz .LBB6_1145
; %bb.1144:
	global_load_u16 v1, v[2:3], off
	s_wait_loadcnt 0x0
	v_cvt_f32_f16_e32 v1, v1
	s_delay_alu instid0(VALU_DEP_1)
	v_cvt_f64_f32_e32 v[4:5], v1
.LBB6_1145:
	s_cbranch_execnz .LBB6_1164
.LBB6_1146:
	s_cmp_lt_i32 s0, 2
	s_cbranch_scc1 .LBB6_1150
; %bb.1147:
	s_cmp_lt_i32 s0, 3
	s_cbranch_scc1 .LBB6_1151
; %bb.1148:
	s_cmp_gt_i32 s0, 3
	s_cbranch_scc0 .LBB6_1152
; %bb.1149:
	s_wait_loadcnt 0x0
	global_load_b64 v[4:5], v[2:3], off
	s_mov_b32 s3, 0
	s_wait_loadcnt 0x0
	v_cvt_f64_i32_e32 v[6:7], v5
	v_cvt_f64_u32_e32 v[4:5], v4
	s_delay_alu instid0(VALU_DEP_2) | instskip(NEXT) | instid1(VALU_DEP_1)
	v_ldexp_f64 v[6:7], v[6:7], 32
	v_add_f64_e32 v[4:5], v[6:7], v[4:5]
	s_branch .LBB6_1153
.LBB6_1150:
                                        ; implicit-def: $vgpr4_vgpr5
	s_branch .LBB6_1159
.LBB6_1151:
	s_mov_b32 s3, -1
                                        ; implicit-def: $vgpr4_vgpr5
	s_branch .LBB6_1156
.LBB6_1152:
	s_mov_b32 s3, -1
                                        ; implicit-def: $vgpr4_vgpr5
.LBB6_1153:
	s_delay_alu instid0(SALU_CYCLE_1)
	s_and_not1_b32 vcc_lo, exec_lo, s3
	s_cbranch_vccnz .LBB6_1155
; %bb.1154:
	global_load_b32 v1, v[2:3], off
	s_wait_loadcnt 0x0
	v_cvt_f64_i32_e32 v[4:5], v1
.LBB6_1155:
	s_mov_b32 s3, 0
.LBB6_1156:
	s_delay_alu instid0(SALU_CYCLE_1)
	s_and_not1_b32 vcc_lo, exec_lo, s3
	s_cbranch_vccnz .LBB6_1158
; %bb.1157:
	global_load_i16 v1, v[2:3], off
	s_wait_loadcnt 0x0
	v_cvt_f64_i32_e32 v[4:5], v1
.LBB6_1158:
	s_cbranch_execnz .LBB6_1164
.LBB6_1159:
	s_cmp_gt_i32 s0, 0
	s_mov_b32 s3, 0
	s_cbranch_scc0 .LBB6_1161
; %bb.1160:
	global_load_i8 v1, v[2:3], off
	s_wait_loadcnt 0x0
	v_cvt_f64_i32_e32 v[4:5], v1
	s_branch .LBB6_1162
.LBB6_1161:
	s_mov_b32 s3, -1
                                        ; implicit-def: $vgpr4_vgpr5
.LBB6_1162:
	s_delay_alu instid0(SALU_CYCLE_1)
	s_and_not1_b32 vcc_lo, exec_lo, s3
	s_cbranch_vccnz .LBB6_1164
; %bb.1163:
	global_load_u8 v1, v[2:3], off
	s_wait_loadcnt 0x0
	v_cvt_f64_u32_e32 v[4:5], v1
.LBB6_1164:
                                        ; implicit-def: $vgpr2_vgpr3
.LBB6_1165:
	v_mov_b64_e32 v[6:7], 1.0
	s_mov_b32 s3, exec_lo
	s_wait_loadcnt 0x0
	s_delay_alu instid0(VALU_DEP_2)
	v_cmpx_lt_f64_e32 s[10:11], v[4:5]
	s_cbranch_execz .LBB6_1167
; %bb.1166:
	v_add_f64_e32 v[2:3], 0x3e7ad7f29abcaf48, v[4:5]
	s_delay_alu instid0(VALU_DEP_1) | instskip(NEXT) | instid1(VALU_DEP_1)
	v_div_scale_f64 v[4:5], null, v[2:3], v[2:3], s[10:11]
	v_rcp_f64_e32 v[6:7], v[4:5]
	v_nop
	s_delay_alu instid0(TRANS32_DEP_1) | instskip(NEXT) | instid1(VALU_DEP_1)
	v_fma_f64 v[8:9], -v[4:5], v[6:7], 1.0
	v_fmac_f64_e32 v[6:7], v[6:7], v[8:9]
	s_delay_alu instid0(VALU_DEP_1) | instskip(NEXT) | instid1(VALU_DEP_1)
	v_fma_f64 v[8:9], -v[4:5], v[6:7], 1.0
	v_fmac_f64_e32 v[6:7], v[6:7], v[8:9]
	v_div_scale_f64 v[8:9], vcc_lo, s[10:11], v[2:3], s[10:11]
	s_delay_alu instid0(VALU_DEP_1) | instskip(NEXT) | instid1(VALU_DEP_1)
	v_mul_f64_e32 v[12:13], v[8:9], v[6:7]
	v_fma_f64 v[4:5], -v[4:5], v[12:13], v[8:9]
	s_delay_alu instid0(VALU_DEP_1) | instskip(NEXT) | instid1(VALU_DEP_1)
	v_div_fmas_f64 v[4:5], v[4:5], v[6:7], v[12:13]
	v_div_fixup_f64 v[6:7], v[4:5], v[2:3], s[10:11]
.LBB6_1167:
	s_or_b32 exec_lo, exec_lo, s3
	s_lshl_b32 s3, s9, 7
	s_cmp_lt_i32 s0, 11
	v_add_nc_u32_e32 v0, s3, v0
	s_delay_alu instid0(VALU_DEP_1) | instskip(NEXT) | instid1(VALU_DEP_1)
	v_ashrrev_i32_e32 v1, 31, v0
	v_add_nc_u64_e32 v[2:3], s[6:7], v[0:1]
	s_cbranch_scc1 .LBB6_1174
; %bb.1168:
	s_cmp_gt_i32 s0, 25
	s_mov_b32 s14, 0
	s_cbranch_scc0 .LBB6_1176
; %bb.1169:
	s_cmp_gt_i32 s0, 28
	s_cbranch_scc0 .LBB6_1177
; %bb.1170:
	s_cmp_gt_i32 s0, 43
	;; [unrolled: 3-line block ×3, first 2 shown]
	s_cbranch_scc0 .LBB6_1180
; %bb.1172:
	s_cmp_eq_u32 s0, 46
	s_mov_b32 s16, 0
	s_cbranch_scc0 .LBB6_1183
; %bb.1173:
	global_load_b32 v1, v[2:3], off
	s_mov_b32 s9, 0
	s_mov_b32 s15, -1
	s_wait_loadcnt 0x0
	v_lshlrev_b32_e32 v1, 16, v1
	s_delay_alu instid0(VALU_DEP_1)
	v_cvt_f64_f32_e32 v[8:9], v1
	s_branch .LBB6_1185
.LBB6_1174:
	s_mov_b32 s15, 0
                                        ; implicit-def: $vgpr8_vgpr9
	s_cbranch_execnz .LBB6_1250
.LBB6_1175:
	s_and_not1_b32 vcc_lo, exec_lo, s15
	s_cbranch_vccnz .LBB6_1642
	s_branch .LBB6_1297
.LBB6_1176:
	s_mov_b32 s15, 0
	s_mov_b32 s9, 0
                                        ; implicit-def: $vgpr8_vgpr9
	s_cbranch_execnz .LBB6_1214
	s_branch .LBB6_1246
.LBB6_1177:
	s_mov_b32 s16, -1
	s_mov_b32 s15, 0
	s_mov_b32 s9, 0
                                        ; implicit-def: $vgpr8_vgpr9
	s_branch .LBB6_1195
.LBB6_1178:
	s_mov_b32 s16, -1
	s_mov_b32 s15, 0
	s_mov_b32 s9, 0
                                        ; implicit-def: $vgpr8_vgpr9
	s_branch .LBB6_1190
.LBB6_1179:
	s_or_b32 s1, s13, exec_lo
	s_trap 2
	s_cbranch_execz .LBB6_1118
	s_branch .LBB6_1119
.LBB6_1180:
	s_mov_b32 s16, -1
	s_mov_b32 s15, 0
	s_mov_b32 s9, 0
	s_branch .LBB6_1184
.LBB6_1181:
	s_and_not1_saveexec_b32 s21, s21
	s_cbranch_execz .LBB6_964
.LBB6_1182:
	v_add_f32_e64 v3, 0x42800000, |v2|
	s_and_not1_b32 s20, s20, exec_lo
	s_delay_alu instid0(VALU_DEP_1) | instskip(NEXT) | instid1(VALU_DEP_1)
	v_and_b32_e32 v3, 0xff, v3
	v_cmp_ne_u32_e32 vcc_lo, 0, v3
	s_and_b32 s22, vcc_lo, exec_lo
	s_delay_alu instid0(SALU_CYCLE_1)
	s_or_b32 s20, s20, s22
	s_or_b32 exec_lo, exec_lo, s21
	v_mov_b32_e32 v6, 0
	s_and_saveexec_b32 s21, s20
	s_cbranch_execnz .LBB6_965
	s_branch .LBB6_966
.LBB6_1183:
	s_mov_b32 s9, -1
	s_mov_b32 s15, 0
.LBB6_1184:
                                        ; implicit-def: $vgpr8_vgpr9
.LBB6_1185:
	s_and_b32 vcc_lo, exec_lo, s16
	s_cbranch_vccz .LBB6_1189
; %bb.1186:
	s_cmp_eq_u32 s0, 44
	s_cbranch_scc0 .LBB6_1188
; %bb.1187:
	global_load_u8 v1, v[2:3], off
	s_mov_b32 s9, 0
	s_mov_b32 s15, -1
	s_wait_loadcnt 0x0
	v_lshlrev_b32_e32 v4, 23, v1
	v_cmp_ne_u32_e32 vcc_lo, 0xff, v1
	s_delay_alu instid0(VALU_DEP_2) | instskip(NEXT) | instid1(VALU_DEP_1)
	v_cvt_f64_f32_e32 v[4:5], v4
	v_cndmask_b32_e32 v4, 0x20000000, v4, vcc_lo
	s_delay_alu instid0(VALU_DEP_2) | instskip(SKIP_1) | instid1(VALU_DEP_2)
	v_cndmask_b32_e32 v5, 0x7ff80000, v5, vcc_lo
	v_cmp_ne_u32_e32 vcc_lo, 0, v1
	v_cndmask_b32_e32 v9, 0x38000000, v5, vcc_lo
	s_delay_alu instid0(VALU_DEP_4)
	v_cndmask_b32_e32 v8, 0, v4, vcc_lo
	s_branch .LBB6_1189
.LBB6_1188:
	s_mov_b32 s9, -1
                                        ; implicit-def: $vgpr8_vgpr9
.LBB6_1189:
	s_mov_b32 s16, 0
.LBB6_1190:
	s_delay_alu instid0(SALU_CYCLE_1)
	s_and_b32 vcc_lo, exec_lo, s16
	s_cbranch_vccz .LBB6_1194
; %bb.1191:
	s_cmp_eq_u32 s0, 29
	s_cbranch_scc0 .LBB6_1193
; %bb.1192:
	global_load_b64 v[4:5], v[2:3], off
	s_mov_b32 s9, 0
	s_mov_b32 s15, -1
	s_mov_b32 s16, 0
	s_wait_loadcnt 0x0
	v_cvt_f64_u32_e32 v[8:9], v5
	v_cvt_f64_u32_e32 v[4:5], v4
	s_delay_alu instid0(VALU_DEP_2) | instskip(NEXT) | instid1(VALU_DEP_1)
	v_ldexp_f64 v[8:9], v[8:9], 32
	v_add_f64_e32 v[8:9], v[8:9], v[4:5]
	s_branch .LBB6_1195
.LBB6_1193:
	s_mov_b32 s9, -1
                                        ; implicit-def: $vgpr8_vgpr9
.LBB6_1194:
	s_mov_b32 s16, 0
.LBB6_1195:
	s_delay_alu instid0(SALU_CYCLE_1)
	s_and_b32 vcc_lo, exec_lo, s16
	s_cbranch_vccz .LBB6_1213
; %bb.1196:
	s_cmp_lt_i32 s0, 27
	s_cbranch_scc1 .LBB6_1199
; %bb.1197:
	s_cmp_gt_i32 s0, 27
	s_cbranch_scc0 .LBB6_1200
; %bb.1198:
	global_load_b32 v1, v[2:3], off
	s_mov_b32 s15, 0
	s_wait_loadcnt 0x0
	v_cvt_f64_u32_e32 v[8:9], v1
	s_branch .LBB6_1201
.LBB6_1199:
	s_mov_b32 s15, -1
                                        ; implicit-def: $vgpr8_vgpr9
	s_branch .LBB6_1204
.LBB6_1200:
	s_mov_b32 s15, -1
                                        ; implicit-def: $vgpr8_vgpr9
.LBB6_1201:
	s_delay_alu instid0(SALU_CYCLE_1)
	s_and_not1_b32 vcc_lo, exec_lo, s15
	s_cbranch_vccnz .LBB6_1203
; %bb.1202:
	global_load_u16 v1, v[2:3], off
	s_wait_loadcnt 0x0
	v_cvt_f64_u32_e32 v[8:9], v1
.LBB6_1203:
	s_mov_b32 s15, 0
.LBB6_1204:
	s_delay_alu instid0(SALU_CYCLE_1)
	s_and_not1_b32 vcc_lo, exec_lo, s15
	s_cbranch_vccnz .LBB6_1212
; %bb.1205:
	global_load_u8 v1, v[2:3], off
	s_mov_b32 s15, 0
	s_mov_b32 s16, exec_lo
	s_wait_loadcnt 0x0
	v_cmpx_lt_i16_e32 0x7f, v1
	s_xor_b32 s16, exec_lo, s16
	s_cbranch_execz .LBB6_1225
; %bb.1206:
	s_mov_b32 s15, -1
	s_mov_b32 s17, exec_lo
	v_cmpx_eq_u16_e32 0x80, v1
; %bb.1207:
	s_xor_b32 s15, exec_lo, -1
; %bb.1208:
	s_or_b32 exec_lo, exec_lo, s17
	s_delay_alu instid0(SALU_CYCLE_1)
	s_and_b32 s15, s15, exec_lo
	s_or_saveexec_b32 s16, s16
	v_mov_b64_e32 v[8:9], 0x7ff8000020000000
	s_xor_b32 exec_lo, exec_lo, s16
	s_cbranch_execnz .LBB6_1226
.LBB6_1209:
	s_or_b32 exec_lo, exec_lo, s16
	s_and_saveexec_b32 s16, s15
	s_cbranch_execz .LBB6_1211
.LBB6_1210:
	v_and_b32_e32 v4, 0xffff, v1
	s_delay_alu instid0(VALU_DEP_1) | instskip(SKIP_1) | instid1(VALU_DEP_2)
	v_dual_lshlrev_b32 v1, 24, v1 :: v_dual_bitop2_b32 v5, 7, v4 bitop3:0x40
	v_bfe_u32 v11, v4, 3, 4
	v_and_b32_e32 v1, 0x80000000, v1
	s_delay_alu instid0(VALU_DEP_3) | instskip(NEXT) | instid1(VALU_DEP_3)
	v_clz_i32_u32_e32 v8, v5
	v_cmp_eq_u32_e32 vcc_lo, 0, v11
	s_delay_alu instid0(VALU_DEP_2) | instskip(NEXT) | instid1(VALU_DEP_1)
	v_min_u32_e32 v8, 32, v8
	v_subrev_nc_u32_e32 v9, 28, v8
	v_sub_nc_u32_e32 v8, 29, v8
	s_delay_alu instid0(VALU_DEP_2) | instskip(NEXT) | instid1(VALU_DEP_2)
	v_lshlrev_b32_e32 v4, v9, v4
	v_cndmask_b32_e32 v8, v11, v8, vcc_lo
	s_delay_alu instid0(VALU_DEP_2) | instskip(NEXT) | instid1(VALU_DEP_1)
	v_and_b32_e32 v4, 7, v4
	v_cndmask_b32_e32 v4, v5, v4, vcc_lo
	s_delay_alu instid0(VALU_DEP_3) | instskip(NEXT) | instid1(VALU_DEP_2)
	v_lshl_add_u32 v5, v8, 23, 0x3b800000
	v_lshlrev_b32_e32 v4, 20, v4
	s_delay_alu instid0(VALU_DEP_1) | instskip(NEXT) | instid1(VALU_DEP_1)
	v_or3_b32 v1, v1, v5, v4
	v_cvt_f64_f32_e32 v[8:9], v1
.LBB6_1211:
	s_or_b32 exec_lo, exec_lo, s16
.LBB6_1212:
	s_mov_b32 s15, -1
.LBB6_1213:
	s_branch .LBB6_1246
.LBB6_1214:
	s_cmp_gt_i32 s0, 22
	s_cbranch_scc0 .LBB6_1224
; %bb.1215:
	s_cmp_lt_i32 s0, 24
	s_cbranch_scc1 .LBB6_1227
; %bb.1216:
	s_cmp_gt_i32 s0, 24
	s_cbranch_scc0 .LBB6_1228
; %bb.1217:
	global_load_u8 v1, v[2:3], off
	s_mov_b32 s15, exec_lo
	s_wait_loadcnt 0x0
	v_cmpx_lt_i16_e32 0x7f, v1
	s_xor_b32 s15, exec_lo, s15
	s_cbranch_execz .LBB6_1240
; %bb.1218:
	s_mov_b32 s14, -1
	s_mov_b32 s16, exec_lo
	v_cmpx_eq_u16_e32 0x80, v1
; %bb.1219:
	s_xor_b32 s14, exec_lo, -1
; %bb.1220:
	s_or_b32 exec_lo, exec_lo, s16
	s_delay_alu instid0(SALU_CYCLE_1)
	s_and_b32 s14, s14, exec_lo
	s_or_saveexec_b32 s15, s15
	v_mov_b64_e32 v[8:9], 0x7ff8000020000000
	s_xor_b32 exec_lo, exec_lo, s15
	s_cbranch_execnz .LBB6_1241
.LBB6_1221:
	s_or_b32 exec_lo, exec_lo, s15
	s_and_saveexec_b32 s15, s14
	s_cbranch_execz .LBB6_1223
.LBB6_1222:
	v_and_b32_e32 v4, 0xffff, v1
	s_delay_alu instid0(VALU_DEP_1) | instskip(SKIP_1) | instid1(VALU_DEP_2)
	v_dual_lshlrev_b32 v1, 24, v1 :: v_dual_bitop2_b32 v5, 3, v4 bitop3:0x40
	v_bfe_u32 v11, v4, 2, 5
	v_and_b32_e32 v1, 0x80000000, v1
	s_delay_alu instid0(VALU_DEP_3) | instskip(NEXT) | instid1(VALU_DEP_3)
	v_clz_i32_u32_e32 v8, v5
	v_cmp_eq_u32_e32 vcc_lo, 0, v11
	s_delay_alu instid0(VALU_DEP_2) | instskip(NEXT) | instid1(VALU_DEP_1)
	v_min_u32_e32 v8, 32, v8
	v_subrev_nc_u32_e32 v9, 29, v8
	v_sub_nc_u32_e32 v8, 30, v8
	s_delay_alu instid0(VALU_DEP_2) | instskip(NEXT) | instid1(VALU_DEP_2)
	v_lshlrev_b32_e32 v4, v9, v4
	v_cndmask_b32_e32 v8, v11, v8, vcc_lo
	s_delay_alu instid0(VALU_DEP_2) | instskip(NEXT) | instid1(VALU_DEP_1)
	v_and_b32_e32 v4, 3, v4
	v_cndmask_b32_e32 v4, v5, v4, vcc_lo
	s_delay_alu instid0(VALU_DEP_3) | instskip(NEXT) | instid1(VALU_DEP_2)
	v_lshl_add_u32 v5, v8, 23, 0x37800000
	v_lshlrev_b32_e32 v4, 21, v4
	s_delay_alu instid0(VALU_DEP_1) | instskip(NEXT) | instid1(VALU_DEP_1)
	v_or3_b32 v1, v1, v5, v4
	v_cvt_f64_f32_e32 v[8:9], v1
.LBB6_1223:
	s_or_b32 exec_lo, exec_lo, s15
	s_mov_b32 s14, 0
	s_branch .LBB6_1229
.LBB6_1224:
	s_mov_b32 s14, -1
                                        ; implicit-def: $vgpr8_vgpr9
	s_branch .LBB6_1235
.LBB6_1225:
	s_or_saveexec_b32 s16, s16
	v_mov_b64_e32 v[8:9], 0x7ff8000020000000
	s_xor_b32 exec_lo, exec_lo, s16
	s_cbranch_execz .LBB6_1209
.LBB6_1226:
	v_cmp_ne_u16_e32 vcc_lo, 0, v1
	v_mov_b64_e32 v[8:9], 0
	s_and_not1_b32 s15, s15, exec_lo
	s_and_b32 s17, vcc_lo, exec_lo
	s_delay_alu instid0(SALU_CYCLE_1)
	s_or_b32 s15, s15, s17
	s_or_b32 exec_lo, exec_lo, s16
	s_and_saveexec_b32 s16, s15
	s_cbranch_execnz .LBB6_1210
	s_branch .LBB6_1211
.LBB6_1227:
	s_mov_b32 s14, -1
                                        ; implicit-def: $vgpr8_vgpr9
	s_branch .LBB6_1232
.LBB6_1228:
	s_mov_b32 s14, -1
                                        ; implicit-def: $vgpr8_vgpr9
.LBB6_1229:
	s_delay_alu instid0(SALU_CYCLE_1)
	s_and_b32 vcc_lo, exec_lo, s14
	s_cbranch_vccz .LBB6_1231
; %bb.1230:
	global_load_u8 v1, v[2:3], off
	s_wait_loadcnt 0x0
	v_lshlrev_b32_e32 v1, 24, v1
	s_delay_alu instid0(VALU_DEP_1) | instskip(NEXT) | instid1(VALU_DEP_1)
	v_and_b32_e32 v4, 0x7f000000, v1
	v_clz_i32_u32_e32 v5, v4
	v_cmp_ne_u32_e32 vcc_lo, 0, v4
	v_add_nc_u32_e32 v9, 0x1000000, v4
	s_delay_alu instid0(VALU_DEP_3) | instskip(NEXT) | instid1(VALU_DEP_1)
	v_min_u32_e32 v5, 32, v5
	v_sub_nc_u32_e64 v5, v5, 4 clamp
	s_delay_alu instid0(VALU_DEP_1) | instskip(NEXT) | instid1(VALU_DEP_1)
	v_dual_lshlrev_b32 v8, v5, v4 :: v_dual_lshlrev_b32 v5, 23, v5
	v_lshrrev_b32_e32 v8, 4, v8
	s_delay_alu instid0(VALU_DEP_1) | instskip(SKIP_1) | instid1(VALU_DEP_2)
	v_sub_nc_u32_e32 v5, v8, v5
	v_ashrrev_i32_e32 v8, 8, v9
	v_add_nc_u32_e32 v5, 0x3c000000, v5
	s_delay_alu instid0(VALU_DEP_1) | instskip(NEXT) | instid1(VALU_DEP_1)
	v_and_or_b32 v5, 0x7f800000, v8, v5
	v_cndmask_b32_e32 v4, 0, v5, vcc_lo
	s_delay_alu instid0(VALU_DEP_1) | instskip(NEXT) | instid1(VALU_DEP_1)
	v_and_or_b32 v1, 0x80000000, v1, v4
	v_cvt_f64_f32_e32 v[8:9], v1
.LBB6_1231:
	s_mov_b32 s14, 0
.LBB6_1232:
	s_delay_alu instid0(SALU_CYCLE_1)
	s_and_not1_b32 vcc_lo, exec_lo, s14
	s_cbranch_vccnz .LBB6_1234
; %bb.1233:
	global_load_u8 v1, v[2:3], off
	s_wait_loadcnt 0x0
	v_lshlrev_b32_e32 v4, 25, v1
	v_lshlrev_b16 v1, 8, v1
	s_delay_alu instid0(VALU_DEP_1) | instskip(SKIP_1) | instid1(VALU_DEP_2)
	v_and_or_b32 v8, 0x7f00, v1, 0.5
	v_bfe_i32 v1, v1, 0, 16
	v_add_f32_e32 v8, -0.5, v8
	v_lshrrev_b32_e32 v5, 4, v4
	v_cmp_gt_u32_e32 vcc_lo, 0x8000000, v4
	s_delay_alu instid0(VALU_DEP_2) | instskip(NEXT) | instid1(VALU_DEP_1)
	v_or_b32_e32 v5, 0x70000000, v5
	v_mul_f32_e32 v5, 0x7800000, v5
	s_delay_alu instid0(VALU_DEP_1) | instskip(NEXT) | instid1(VALU_DEP_1)
	v_cndmask_b32_e32 v4, v5, v8, vcc_lo
	v_and_or_b32 v1, 0x80000000, v1, v4
	s_delay_alu instid0(VALU_DEP_1)
	v_cvt_f64_f32_e32 v[8:9], v1
.LBB6_1234:
	s_mov_b32 s14, 0
	s_mov_b32 s15, -1
.LBB6_1235:
	s_and_not1_b32 vcc_lo, exec_lo, s14
	s_mov_b32 s14, 0
	s_cbranch_vccnz .LBB6_1246
; %bb.1236:
	s_cmp_gt_i32 s0, 14
	s_cbranch_scc0 .LBB6_1239
; %bb.1237:
	s_cmp_eq_u32 s0, 15
	s_cbranch_scc0 .LBB6_1242
; %bb.1238:
	global_load_u16 v1, v[2:3], off
	s_mov_b32 s9, 0
	s_mov_b32 s15, -1
	s_wait_loadcnt 0x0
	v_lshlrev_b32_e32 v1, 16, v1
	s_delay_alu instid0(VALU_DEP_1)
	v_cvt_f64_f32_e32 v[8:9], v1
	s_branch .LBB6_1244
.LBB6_1239:
	s_mov_b32 s14, -1
	s_branch .LBB6_1243
.LBB6_1240:
	s_or_saveexec_b32 s15, s15
	v_mov_b64_e32 v[8:9], 0x7ff8000020000000
	s_xor_b32 exec_lo, exec_lo, s15
	s_cbranch_execz .LBB6_1221
.LBB6_1241:
	v_cmp_ne_u16_e32 vcc_lo, 0, v1
	v_mov_b64_e32 v[8:9], 0
	s_and_not1_b32 s14, s14, exec_lo
	s_and_b32 s16, vcc_lo, exec_lo
	s_delay_alu instid0(SALU_CYCLE_1)
	s_or_b32 s14, s14, s16
	s_or_b32 exec_lo, exec_lo, s15
	s_and_saveexec_b32 s15, s14
	s_cbranch_execnz .LBB6_1222
	s_branch .LBB6_1223
.LBB6_1242:
	s_mov_b32 s9, -1
.LBB6_1243:
                                        ; implicit-def: $vgpr8_vgpr9
.LBB6_1244:
	s_and_b32 vcc_lo, exec_lo, s14
	s_mov_b32 s14, 0
	s_cbranch_vccz .LBB6_1246
; %bb.1245:
	s_cmp_lg_u32 s0, 11
	s_mov_b32 s14, -1
	s_cselect_b32 s9, -1, 0
.LBB6_1246:
	s_delay_alu instid0(SALU_CYCLE_1)
	s_and_b32 vcc_lo, exec_lo, s9
	s_cbranch_vccnz .LBB6_1311
; %bb.1247:
	s_and_not1_b32 vcc_lo, exec_lo, s14
	s_cbranch_vccnz .LBB6_1249
.LBB6_1248:
	global_load_u8 v1, v[2:3], off
	v_mov_b32_e32 v8, 0
	s_mov_b32 s15, -1
	s_wait_loadcnt 0x0
	v_cmp_ne_u16_e32 vcc_lo, 0, v1
	v_cndmask_b32_e64 v9, 0, 0x3ff00000, vcc_lo
.LBB6_1249:
	s_branch .LBB6_1175
.LBB6_1250:
	s_cmp_lt_i32 s0, 5
	s_cbranch_scc1 .LBB6_1255
; %bb.1251:
	s_cmp_lt_i32 s0, 8
	s_cbranch_scc1 .LBB6_1256
; %bb.1252:
	;; [unrolled: 3-line block ×3, first 2 shown]
	s_cmp_gt_i32 s0, 9
	s_cbranch_scc0 .LBB6_1258
; %bb.1254:
	global_load_b64 v[8:9], v[2:3], off
	s_mov_b32 s9, 0
	s_branch .LBB6_1259
.LBB6_1255:
                                        ; implicit-def: $vgpr8_vgpr9
	s_branch .LBB6_1277
.LBB6_1256:
	s_mov_b32 s9, -1
                                        ; implicit-def: $vgpr8_vgpr9
	s_branch .LBB6_1265
.LBB6_1257:
	s_mov_b32 s9, -1
                                        ; implicit-def: $vgpr8_vgpr9
	s_branch .LBB6_1262
.LBB6_1258:
	s_mov_b32 s9, -1
                                        ; implicit-def: $vgpr8_vgpr9
.LBB6_1259:
	s_delay_alu instid0(SALU_CYCLE_1)
	s_and_not1_b32 vcc_lo, exec_lo, s9
	s_cbranch_vccnz .LBB6_1261
; %bb.1260:
	global_load_b32 v1, v[2:3], off
	s_wait_loadcnt 0x0
	v_cvt_f64_f32_e32 v[8:9], v1
.LBB6_1261:
	s_mov_b32 s9, 0
.LBB6_1262:
	s_delay_alu instid0(SALU_CYCLE_1)
	s_and_not1_b32 vcc_lo, exec_lo, s9
	s_cbranch_vccnz .LBB6_1264
; %bb.1263:
	global_load_b32 v1, v[2:3], off
	s_wait_loadcnt 0x0
	v_cvt_f32_f16_e32 v1, v1
	s_delay_alu instid0(VALU_DEP_1)
	v_cvt_f64_f32_e32 v[8:9], v1
.LBB6_1264:
	s_mov_b32 s9, 0
.LBB6_1265:
	s_delay_alu instid0(SALU_CYCLE_1)
	s_and_not1_b32 vcc_lo, exec_lo, s9
	s_cbranch_vccnz .LBB6_1276
; %bb.1266:
	s_cmp_lt_i32 s0, 6
	s_cbranch_scc1 .LBB6_1269
; %bb.1267:
	s_cmp_gt_i32 s0, 6
	s_cbranch_scc0 .LBB6_1270
; %bb.1268:
	s_wait_loadcnt 0x0
	global_load_b64 v[8:9], v[2:3], off
	s_mov_b32 s9, 0
	s_branch .LBB6_1271
.LBB6_1269:
	s_mov_b32 s9, -1
                                        ; implicit-def: $vgpr8_vgpr9
	s_branch .LBB6_1274
.LBB6_1270:
	s_mov_b32 s9, -1
                                        ; implicit-def: $vgpr8_vgpr9
.LBB6_1271:
	s_delay_alu instid0(SALU_CYCLE_1)
	s_and_not1_b32 vcc_lo, exec_lo, s9
	s_cbranch_vccnz .LBB6_1273
; %bb.1272:
	global_load_b32 v1, v[2:3], off
	s_wait_loadcnt 0x0
	v_cvt_f64_f32_e32 v[8:9], v1
.LBB6_1273:
	s_mov_b32 s9, 0
.LBB6_1274:
	s_delay_alu instid0(SALU_CYCLE_1)
	s_and_not1_b32 vcc_lo, exec_lo, s9
	s_cbranch_vccnz .LBB6_1276
; %bb.1275:
	global_load_u16 v1, v[2:3], off
	s_wait_loadcnt 0x0
	v_cvt_f32_f16_e32 v1, v1
	s_delay_alu instid0(VALU_DEP_1)
	v_cvt_f64_f32_e32 v[8:9], v1
.LBB6_1276:
	s_cbranch_execnz .LBB6_1296
.LBB6_1277:
	s_cmp_lt_i32 s0, 2
	s_cbranch_scc1 .LBB6_1281
; %bb.1278:
	s_cmp_lt_i32 s0, 3
	s_cbranch_scc1 .LBB6_1282
; %bb.1279:
	s_cmp_gt_i32 s0, 3
	s_cbranch_scc0 .LBB6_1283
; %bb.1280:
	global_load_b64 v[4:5], v[2:3], off
	s_mov_b32 s9, 0
	s_wait_loadcnt 0x0
	v_cvt_f64_i32_e32 v[8:9], v5
	v_cvt_f64_u32_e32 v[4:5], v4
	s_delay_alu instid0(VALU_DEP_2) | instskip(NEXT) | instid1(VALU_DEP_1)
	v_ldexp_f64 v[8:9], v[8:9], 32
	v_add_f64_e32 v[8:9], v[8:9], v[4:5]
	s_branch .LBB6_1284
.LBB6_1281:
	s_mov_b32 s9, -1
                                        ; implicit-def: $vgpr8_vgpr9
	s_branch .LBB6_1290
.LBB6_1282:
	s_mov_b32 s9, -1
                                        ; implicit-def: $vgpr8_vgpr9
	s_branch .LBB6_1287
.LBB6_1283:
	s_mov_b32 s9, -1
                                        ; implicit-def: $vgpr8_vgpr9
.LBB6_1284:
	s_delay_alu instid0(SALU_CYCLE_1)
	s_and_not1_b32 vcc_lo, exec_lo, s9
	s_cbranch_vccnz .LBB6_1286
; %bb.1285:
	global_load_b32 v1, v[2:3], off
	s_wait_loadcnt 0x0
	v_cvt_f64_i32_e32 v[8:9], v1
.LBB6_1286:
	s_mov_b32 s9, 0
.LBB6_1287:
	s_delay_alu instid0(SALU_CYCLE_1)
	s_and_not1_b32 vcc_lo, exec_lo, s9
	s_cbranch_vccnz .LBB6_1289
; %bb.1288:
	global_load_i16 v1, v[2:3], off
	s_wait_loadcnt 0x0
	v_cvt_f64_i32_e32 v[8:9], v1
.LBB6_1289:
	s_mov_b32 s9, 0
.LBB6_1290:
	s_delay_alu instid0(SALU_CYCLE_1)
	s_and_not1_b32 vcc_lo, exec_lo, s9
	s_cbranch_vccnz .LBB6_1296
; %bb.1291:
	s_cmp_gt_i32 s0, 0
	s_mov_b32 s9, 0
	s_cbranch_scc0 .LBB6_1293
; %bb.1292:
	global_load_i8 v1, v[2:3], off
	s_wait_loadcnt 0x0
	v_cvt_f64_i32_e32 v[8:9], v1
	s_branch .LBB6_1294
.LBB6_1293:
	s_mov_b32 s9, -1
                                        ; implicit-def: $vgpr8_vgpr9
.LBB6_1294:
	s_delay_alu instid0(SALU_CYCLE_1)
	s_and_not1_b32 vcc_lo, exec_lo, s9
	s_cbranch_vccnz .LBB6_1296
; %bb.1295:
	global_load_u8 v1, v[2:3], off
	s_wait_loadcnt 0x0
	v_cvt_f64_u32_e32 v[8:9], v1
.LBB6_1296:
.LBB6_1297:
	v_mov_b64_e32 v[4:5], 1.0
	s_mov_b32 s9, exec_lo
	s_wait_loadcnt 0x0
	s_delay_alu instid0(VALU_DEP_2)
	v_cmpx_lt_f64_e32 s[10:11], v[8:9]
	s_cbranch_execz .LBB6_1299
; %bb.1298:
	v_add_f64_e32 v[2:3], 0x3e7ad7f29abcaf48, v[8:9]
	s_delay_alu instid0(VALU_DEP_1) | instskip(NEXT) | instid1(VALU_DEP_1)
	v_div_scale_f64 v[4:5], null, v[2:3], v[2:3], s[10:11]
	v_rcp_f64_e32 v[8:9], v[4:5]
	v_nop
	s_delay_alu instid0(TRANS32_DEP_1) | instskip(NEXT) | instid1(VALU_DEP_1)
	v_fma_f64 v[12:13], -v[4:5], v[8:9], 1.0
	v_fmac_f64_e32 v[8:9], v[8:9], v[12:13]
	s_delay_alu instid0(VALU_DEP_1) | instskip(NEXT) | instid1(VALU_DEP_1)
	v_fma_f64 v[12:13], -v[4:5], v[8:9], 1.0
	v_fmac_f64_e32 v[8:9], v[8:9], v[12:13]
	v_div_scale_f64 v[12:13], vcc_lo, s[10:11], v[2:3], s[10:11]
	s_delay_alu instid0(VALU_DEP_1) | instskip(NEXT) | instid1(VALU_DEP_1)
	v_mul_f64_e32 v[14:15], v[12:13], v[8:9]
	v_fma_f64 v[4:5], -v[4:5], v[14:15], v[12:13]
	s_delay_alu instid0(VALU_DEP_1) | instskip(NEXT) | instid1(VALU_DEP_1)
	v_div_fmas_f64 v[4:5], v[4:5], v[8:9], v[14:15]
	v_div_fixup_f64 v[4:5], v[4:5], v[2:3], s[10:11]
.LBB6_1299:
	s_or_b32 exec_lo, exec_lo, s9
	v_add_nc_u32_e32 v0, s3, v0
	s_cmp_lt_i32 s0, 11
	s_delay_alu instid0(VALU_DEP_1) | instskip(NEXT) | instid1(VALU_DEP_1)
	v_ashrrev_i32_e32 v1, 31, v0
	v_add_nc_u64_e32 v[2:3], s[6:7], v[0:1]
	s_cbranch_scc1 .LBB6_1306
; %bb.1300:
	s_cmp_gt_i32 s0, 25
	s_mov_b32 s14, 0
	s_cbranch_scc0 .LBB6_1308
; %bb.1301:
	s_cmp_gt_i32 s0, 28
	s_cbranch_scc0 .LBB6_1309
; %bb.1302:
	s_cmp_gt_i32 s0, 43
	;; [unrolled: 3-line block ×3, first 2 shown]
	s_cbranch_scc0 .LBB6_1312
; %bb.1304:
	s_cmp_eq_u32 s0, 46
	s_mov_b32 s16, 0
	s_cbranch_scc0 .LBB6_1313
; %bb.1305:
	global_load_b32 v1, v[2:3], off
	s_mov_b32 s9, 0
	s_mov_b32 s15, -1
	s_wait_loadcnt 0x0
	v_lshlrev_b32_e32 v1, 16, v1
	s_delay_alu instid0(VALU_DEP_1)
	v_cvt_f64_f32_e32 v[8:9], v1
	s_branch .LBB6_1315
.LBB6_1306:
	s_mov_b32 s15, 0
                                        ; implicit-def: $vgpr8_vgpr9
	s_cbranch_execnz .LBB6_1381
.LBB6_1307:
	s_and_not1_b32 vcc_lo, exec_lo, s15
	s_cbranch_vccnz .LBB6_1642
	s_branch .LBB6_1429
.LBB6_1308:
	s_mov_b32 s16, -1
	s_mov_b32 s15, 0
	s_mov_b32 s9, 0
                                        ; implicit-def: $vgpr8_vgpr9
	s_branch .LBB6_1344
.LBB6_1309:
	s_mov_b32 s16, -1
	s_mov_b32 s15, 0
	s_mov_b32 s9, 0
                                        ; implicit-def: $vgpr8_vgpr9
	s_branch .LBB6_1325
.LBB6_1310:
	s_mov_b32 s16, -1
	s_mov_b32 s15, 0
	s_mov_b32 s9, 0
                                        ; implicit-def: $vgpr8_vgpr9
	s_branch .LBB6_1320
.LBB6_1311:
	s_or_b32 s1, s1, exec_lo
	s_trap 2
	s_cbranch_execz .LBB6_1248
	s_branch .LBB6_1249
.LBB6_1312:
	s_mov_b32 s16, -1
	s_mov_b32 s15, 0
	s_mov_b32 s9, 0
	s_branch .LBB6_1314
.LBB6_1313:
	s_mov_b32 s9, -1
	s_mov_b32 s15, 0
.LBB6_1314:
                                        ; implicit-def: $vgpr8_vgpr9
.LBB6_1315:
	s_and_b32 vcc_lo, exec_lo, s16
	s_cbranch_vccz .LBB6_1319
; %bb.1316:
	s_cmp_eq_u32 s0, 44
	s_cbranch_scc0 .LBB6_1318
; %bb.1317:
	global_load_u8 v1, v[2:3], off
	s_mov_b32 s9, 0
	s_mov_b32 s15, -1
	s_wait_loadcnt 0x0
	v_lshlrev_b32_e32 v8, 23, v1
	v_cmp_ne_u32_e32 vcc_lo, 0xff, v1
	s_delay_alu instid0(VALU_DEP_2) | instskip(NEXT) | instid1(VALU_DEP_1)
	v_cvt_f64_f32_e32 v[8:9], v8
	v_cndmask_b32_e32 v8, 0x20000000, v8, vcc_lo
	s_delay_alu instid0(VALU_DEP_2) | instskip(SKIP_1) | instid1(VALU_DEP_2)
	v_cndmask_b32_e32 v9, 0x7ff80000, v9, vcc_lo
	v_cmp_ne_u32_e32 vcc_lo, 0, v1
	v_cndmask_b32_e32 v9, 0x38000000, v9, vcc_lo
	s_delay_alu instid0(VALU_DEP_4)
	v_cndmask_b32_e32 v8, 0, v8, vcc_lo
	s_branch .LBB6_1319
.LBB6_1318:
	s_mov_b32 s9, -1
                                        ; implicit-def: $vgpr8_vgpr9
.LBB6_1319:
	s_mov_b32 s16, 0
.LBB6_1320:
	s_delay_alu instid0(SALU_CYCLE_1)
	s_and_b32 vcc_lo, exec_lo, s16
	s_cbranch_vccz .LBB6_1324
; %bb.1321:
	s_cmp_eq_u32 s0, 29
	s_cbranch_scc0 .LBB6_1323
; %bb.1322:
	global_load_b64 v[8:9], v[2:3], off
	s_mov_b32 s9, 0
	s_mov_b32 s15, -1
	s_mov_b32 s16, 0
	s_wait_loadcnt 0x0
	v_cvt_f64_u32_e32 v[12:13], v9
	v_cvt_f64_u32_e32 v[8:9], v8
	s_delay_alu instid0(VALU_DEP_2) | instskip(NEXT) | instid1(VALU_DEP_1)
	v_ldexp_f64 v[12:13], v[12:13], 32
	v_add_f64_e32 v[8:9], v[12:13], v[8:9]
	s_branch .LBB6_1325
.LBB6_1323:
	s_mov_b32 s9, -1
                                        ; implicit-def: $vgpr8_vgpr9
.LBB6_1324:
	s_mov_b32 s16, 0
.LBB6_1325:
	s_delay_alu instid0(SALU_CYCLE_1)
	s_and_b32 vcc_lo, exec_lo, s16
	s_cbranch_vccz .LBB6_1343
; %bb.1326:
	s_cmp_lt_i32 s0, 27
	s_cbranch_scc1 .LBB6_1329
; %bb.1327:
	s_cmp_gt_i32 s0, 27
	s_cbranch_scc0 .LBB6_1330
; %bb.1328:
	global_load_b32 v1, v[2:3], off
	s_mov_b32 s15, 0
	s_wait_loadcnt 0x0
	v_cvt_f64_u32_e32 v[8:9], v1
	s_branch .LBB6_1331
.LBB6_1329:
	s_mov_b32 s15, -1
                                        ; implicit-def: $vgpr8_vgpr9
	s_branch .LBB6_1334
.LBB6_1330:
	s_mov_b32 s15, -1
                                        ; implicit-def: $vgpr8_vgpr9
.LBB6_1331:
	s_delay_alu instid0(SALU_CYCLE_1)
	s_and_not1_b32 vcc_lo, exec_lo, s15
	s_cbranch_vccnz .LBB6_1333
; %bb.1332:
	global_load_u16 v1, v[2:3], off
	s_wait_loadcnt 0x0
	v_cvt_f64_u32_e32 v[8:9], v1
.LBB6_1333:
	s_mov_b32 s15, 0
.LBB6_1334:
	s_delay_alu instid0(SALU_CYCLE_1)
	s_and_not1_b32 vcc_lo, exec_lo, s15
	s_cbranch_vccnz .LBB6_1342
; %bb.1335:
	global_load_u8 v1, v[2:3], off
	s_mov_b32 s15, 0
	s_mov_b32 s16, exec_lo
	s_wait_loadcnt 0x0
	v_cmpx_lt_i16_e32 0x7f, v1
	s_xor_b32 s16, exec_lo, s16
	s_cbranch_execz .LBB6_1356
; %bb.1336:
	s_mov_b32 s15, -1
	s_mov_b32 s17, exec_lo
	v_cmpx_eq_u16_e32 0x80, v1
; %bb.1337:
	s_xor_b32 s15, exec_lo, -1
; %bb.1338:
	s_or_b32 exec_lo, exec_lo, s17
	s_delay_alu instid0(SALU_CYCLE_1)
	s_and_b32 s15, s15, exec_lo
	s_or_saveexec_b32 s16, s16
	v_mov_b64_e32 v[8:9], 0x7ff8000020000000
	s_xor_b32 exec_lo, exec_lo, s16
	s_cbranch_execnz .LBB6_1357
.LBB6_1339:
	s_or_b32 exec_lo, exec_lo, s16
	s_and_saveexec_b32 s16, s15
	s_cbranch_execz .LBB6_1341
.LBB6_1340:
	v_and_b32_e32 v8, 0xffff, v1
	s_delay_alu instid0(VALU_DEP_1) | instskip(SKIP_1) | instid1(VALU_DEP_2)
	v_and_b32_e32 v9, 7, v8
	v_bfe_u32 v13, v8, 3, 4
	v_clz_i32_u32_e32 v11, v9
	s_delay_alu instid0(VALU_DEP_2) | instskip(NEXT) | instid1(VALU_DEP_2)
	v_cmp_eq_u32_e32 vcc_lo, 0, v13
	v_min_u32_e32 v11, 32, v11
	s_delay_alu instid0(VALU_DEP_1) | instskip(NEXT) | instid1(VALU_DEP_1)
	v_subrev_nc_u32_e32 v12, 28, v11
	v_dual_lshlrev_b32 v8, v12, v8 :: v_dual_sub_nc_u32 v11, 29, v11
	s_delay_alu instid0(VALU_DEP_1) | instskip(NEXT) | instid1(VALU_DEP_2)
	v_dual_lshlrev_b32 v1, 24, v1 :: v_dual_bitop2_b32 v8, 7, v8 bitop3:0x40
	v_cndmask_b32_e32 v11, v13, v11, vcc_lo
	s_delay_alu instid0(VALU_DEP_2) | instskip(NEXT) | instid1(VALU_DEP_3)
	v_cndmask_b32_e32 v8, v9, v8, vcc_lo
	v_and_b32_e32 v1, 0x80000000, v1
	s_delay_alu instid0(VALU_DEP_3) | instskip(NEXT) | instid1(VALU_DEP_3)
	v_lshl_add_u32 v9, v11, 23, 0x3b800000
	v_lshlrev_b32_e32 v8, 20, v8
	s_delay_alu instid0(VALU_DEP_1) | instskip(NEXT) | instid1(VALU_DEP_1)
	v_or3_b32 v1, v1, v9, v8
	v_cvt_f64_f32_e32 v[8:9], v1
.LBB6_1341:
	s_or_b32 exec_lo, exec_lo, s16
.LBB6_1342:
	s_mov_b32 s15, -1
.LBB6_1343:
	s_mov_b32 s16, 0
.LBB6_1344:
	s_delay_alu instid0(SALU_CYCLE_1)
	s_and_b32 vcc_lo, exec_lo, s16
	s_cbranch_vccz .LBB6_1377
; %bb.1345:
	s_cmp_gt_i32 s0, 22
	s_cbranch_scc0 .LBB6_1355
; %bb.1346:
	s_cmp_lt_i32 s0, 24
	s_cbranch_scc1 .LBB6_1358
; %bb.1347:
	s_cmp_gt_i32 s0, 24
	s_cbranch_scc0 .LBB6_1359
; %bb.1348:
	global_load_u8 v1, v[2:3], off
	s_mov_b32 s15, exec_lo
	s_wait_loadcnt 0x0
	v_cmpx_lt_i16_e32 0x7f, v1
	s_xor_b32 s15, exec_lo, s15
	s_cbranch_execz .LBB6_1371
; %bb.1349:
	s_mov_b32 s14, -1
	s_mov_b32 s16, exec_lo
	v_cmpx_eq_u16_e32 0x80, v1
; %bb.1350:
	s_xor_b32 s14, exec_lo, -1
; %bb.1351:
	s_or_b32 exec_lo, exec_lo, s16
	s_delay_alu instid0(SALU_CYCLE_1)
	s_and_b32 s14, s14, exec_lo
	s_or_saveexec_b32 s15, s15
	v_mov_b64_e32 v[8:9], 0x7ff8000020000000
	s_xor_b32 exec_lo, exec_lo, s15
	s_cbranch_execnz .LBB6_1372
.LBB6_1352:
	s_or_b32 exec_lo, exec_lo, s15
	s_and_saveexec_b32 s15, s14
	s_cbranch_execz .LBB6_1354
.LBB6_1353:
	v_and_b32_e32 v8, 0xffff, v1
	s_delay_alu instid0(VALU_DEP_1) | instskip(SKIP_1) | instid1(VALU_DEP_2)
	v_and_b32_e32 v9, 3, v8
	v_bfe_u32 v13, v8, 2, 5
	v_clz_i32_u32_e32 v11, v9
	s_delay_alu instid0(VALU_DEP_2) | instskip(NEXT) | instid1(VALU_DEP_2)
	v_cmp_eq_u32_e32 vcc_lo, 0, v13
	v_min_u32_e32 v11, 32, v11
	s_delay_alu instid0(VALU_DEP_1) | instskip(NEXT) | instid1(VALU_DEP_1)
	v_subrev_nc_u32_e32 v12, 29, v11
	v_dual_lshlrev_b32 v8, v12, v8 :: v_dual_sub_nc_u32 v11, 30, v11
	s_delay_alu instid0(VALU_DEP_1) | instskip(NEXT) | instid1(VALU_DEP_2)
	v_dual_lshlrev_b32 v1, 24, v1 :: v_dual_bitop2_b32 v8, 3, v8 bitop3:0x40
	v_cndmask_b32_e32 v11, v13, v11, vcc_lo
	s_delay_alu instid0(VALU_DEP_2) | instskip(NEXT) | instid1(VALU_DEP_3)
	v_cndmask_b32_e32 v8, v9, v8, vcc_lo
	v_and_b32_e32 v1, 0x80000000, v1
	s_delay_alu instid0(VALU_DEP_3) | instskip(NEXT) | instid1(VALU_DEP_3)
	v_lshl_add_u32 v9, v11, 23, 0x37800000
	v_lshlrev_b32_e32 v8, 21, v8
	s_delay_alu instid0(VALU_DEP_1) | instskip(NEXT) | instid1(VALU_DEP_1)
	v_or3_b32 v1, v1, v9, v8
	v_cvt_f64_f32_e32 v[8:9], v1
.LBB6_1354:
	s_or_b32 exec_lo, exec_lo, s15
	s_mov_b32 s14, 0
	s_branch .LBB6_1360
.LBB6_1355:
	s_mov_b32 s14, -1
                                        ; implicit-def: $vgpr8_vgpr9
	s_branch .LBB6_1366
.LBB6_1356:
	s_or_saveexec_b32 s16, s16
	v_mov_b64_e32 v[8:9], 0x7ff8000020000000
	s_xor_b32 exec_lo, exec_lo, s16
	s_cbranch_execz .LBB6_1339
.LBB6_1357:
	v_cmp_ne_u16_e32 vcc_lo, 0, v1
	v_mov_b64_e32 v[8:9], 0
	s_and_not1_b32 s15, s15, exec_lo
	s_and_b32 s17, vcc_lo, exec_lo
	s_delay_alu instid0(SALU_CYCLE_1)
	s_or_b32 s15, s15, s17
	s_or_b32 exec_lo, exec_lo, s16
	s_and_saveexec_b32 s16, s15
	s_cbranch_execnz .LBB6_1340
	s_branch .LBB6_1341
.LBB6_1358:
	s_mov_b32 s14, -1
                                        ; implicit-def: $vgpr8_vgpr9
	s_branch .LBB6_1363
.LBB6_1359:
	s_mov_b32 s14, -1
                                        ; implicit-def: $vgpr8_vgpr9
.LBB6_1360:
	s_delay_alu instid0(SALU_CYCLE_1)
	s_and_b32 vcc_lo, exec_lo, s14
	s_cbranch_vccz .LBB6_1362
; %bb.1361:
	global_load_u8 v1, v[2:3], off
	s_wait_loadcnt 0x0
	v_lshlrev_b32_e32 v1, 24, v1
	s_delay_alu instid0(VALU_DEP_1) | instskip(NEXT) | instid1(VALU_DEP_1)
	v_and_b32_e32 v8, 0x7f000000, v1
	v_clz_i32_u32_e32 v9, v8
	v_add_nc_u32_e32 v12, 0x1000000, v8
	v_cmp_ne_u32_e32 vcc_lo, 0, v8
	s_delay_alu instid0(VALU_DEP_3) | instskip(NEXT) | instid1(VALU_DEP_1)
	v_min_u32_e32 v9, 32, v9
	v_sub_nc_u32_e64 v9, v9, 4 clamp
	s_delay_alu instid0(VALU_DEP_1) | instskip(NEXT) | instid1(VALU_DEP_1)
	v_dual_lshlrev_b32 v11, v9, v8 :: v_dual_lshlrev_b32 v9, 23, v9
	v_lshrrev_b32_e32 v11, 4, v11
	s_delay_alu instid0(VALU_DEP_1) | instskip(NEXT) | instid1(VALU_DEP_1)
	v_dual_sub_nc_u32 v9, v11, v9 :: v_dual_ashrrev_i32 v11, 8, v12
	v_add_nc_u32_e32 v9, 0x3c000000, v9
	s_delay_alu instid0(VALU_DEP_1) | instskip(NEXT) | instid1(VALU_DEP_1)
	v_and_or_b32 v9, 0x7f800000, v11, v9
	v_cndmask_b32_e32 v8, 0, v9, vcc_lo
	s_delay_alu instid0(VALU_DEP_1) | instskip(NEXT) | instid1(VALU_DEP_1)
	v_and_or_b32 v1, 0x80000000, v1, v8
	v_cvt_f64_f32_e32 v[8:9], v1
.LBB6_1362:
	s_mov_b32 s14, 0
.LBB6_1363:
	s_delay_alu instid0(SALU_CYCLE_1)
	s_and_not1_b32 vcc_lo, exec_lo, s14
	s_cbranch_vccnz .LBB6_1365
; %bb.1364:
	global_load_u8 v1, v[2:3], off
	s_wait_loadcnt 0x0
	v_lshlrev_b32_e32 v8, 25, v1
	v_lshlrev_b16 v1, 8, v1
	s_delay_alu instid0(VALU_DEP_1) | instskip(SKIP_1) | instid1(VALU_DEP_2)
	v_and_or_b32 v11, 0x7f00, v1, 0.5
	v_bfe_i32 v1, v1, 0, 16
	v_dual_add_f32 v11, -0.5, v11 :: v_dual_lshrrev_b32 v9, 4, v8
	v_cmp_gt_u32_e32 vcc_lo, 0x8000000, v8
	s_delay_alu instid0(VALU_DEP_2) | instskip(NEXT) | instid1(VALU_DEP_1)
	v_or_b32_e32 v9, 0x70000000, v9
	v_mul_f32_e32 v9, 0x7800000, v9
	s_delay_alu instid0(VALU_DEP_1) | instskip(NEXT) | instid1(VALU_DEP_1)
	v_cndmask_b32_e32 v8, v9, v11, vcc_lo
	v_and_or_b32 v1, 0x80000000, v1, v8
	s_delay_alu instid0(VALU_DEP_1)
	v_cvt_f64_f32_e32 v[8:9], v1
.LBB6_1365:
	s_mov_b32 s14, 0
	s_mov_b32 s15, -1
.LBB6_1366:
	s_and_not1_b32 vcc_lo, exec_lo, s14
	s_mov_b32 s14, 0
	s_cbranch_vccnz .LBB6_1377
; %bb.1367:
	s_cmp_gt_i32 s0, 14
	s_cbranch_scc0 .LBB6_1370
; %bb.1368:
	s_cmp_eq_u32 s0, 15
	s_cbranch_scc0 .LBB6_1373
; %bb.1369:
	global_load_u16 v1, v[2:3], off
	s_mov_b32 s9, 0
	s_mov_b32 s15, -1
	s_wait_loadcnt 0x0
	v_lshlrev_b32_e32 v1, 16, v1
	s_delay_alu instid0(VALU_DEP_1)
	v_cvt_f64_f32_e32 v[8:9], v1
	s_branch .LBB6_1375
.LBB6_1370:
	s_mov_b32 s14, -1
	s_branch .LBB6_1374
.LBB6_1371:
	s_or_saveexec_b32 s15, s15
	v_mov_b64_e32 v[8:9], 0x7ff8000020000000
	s_xor_b32 exec_lo, exec_lo, s15
	s_cbranch_execz .LBB6_1352
.LBB6_1372:
	v_cmp_ne_u16_e32 vcc_lo, 0, v1
	v_mov_b64_e32 v[8:9], 0
	s_and_not1_b32 s14, s14, exec_lo
	s_and_b32 s16, vcc_lo, exec_lo
	s_delay_alu instid0(SALU_CYCLE_1)
	s_or_b32 s14, s14, s16
	s_or_b32 exec_lo, exec_lo, s15
	s_and_saveexec_b32 s15, s14
	s_cbranch_execnz .LBB6_1353
	s_branch .LBB6_1354
.LBB6_1373:
	s_mov_b32 s9, -1
.LBB6_1374:
                                        ; implicit-def: $vgpr8_vgpr9
.LBB6_1375:
	s_and_b32 vcc_lo, exec_lo, s14
	s_mov_b32 s14, 0
	s_cbranch_vccz .LBB6_1377
; %bb.1376:
	s_cmp_lg_u32 s0, 11
	s_mov_b32 s14, -1
	s_cselect_b32 s9, -1, 0
.LBB6_1377:
	s_delay_alu instid0(SALU_CYCLE_1)
	s_and_b32 vcc_lo, exec_lo, s9
	s_cbranch_vccnz .LBB6_1442
; %bb.1378:
	s_and_not1_b32 vcc_lo, exec_lo, s14
	s_cbranch_vccnz .LBB6_1380
.LBB6_1379:
	global_load_u8 v1, v[2:3], off
	v_mov_b32_e32 v8, 0
	s_mov_b32 s15, -1
	s_wait_loadcnt 0x0
	v_cmp_ne_u16_e32 vcc_lo, 0, v1
	v_cndmask_b32_e64 v9, 0, 0x3ff00000, vcc_lo
.LBB6_1380:
	s_branch .LBB6_1307
.LBB6_1381:
	s_cmp_lt_i32 s0, 5
	s_cbranch_scc1 .LBB6_1386
; %bb.1382:
	s_cmp_lt_i32 s0, 8
	s_cbranch_scc1 .LBB6_1387
; %bb.1383:
	;; [unrolled: 3-line block ×3, first 2 shown]
	s_cmp_gt_i32 s0, 9
	s_cbranch_scc0 .LBB6_1389
; %bb.1385:
	global_load_b64 v[8:9], v[2:3], off
	s_mov_b32 s9, 0
	s_branch .LBB6_1390
.LBB6_1386:
	s_mov_b32 s9, -1
                                        ; implicit-def: $vgpr8_vgpr9
	s_branch .LBB6_1408
.LBB6_1387:
	s_mov_b32 s9, -1
                                        ; implicit-def: $vgpr8_vgpr9
	s_branch .LBB6_1396
.LBB6_1388:
	s_mov_b32 s9, -1
                                        ; implicit-def: $vgpr8_vgpr9
	s_branch .LBB6_1393
.LBB6_1389:
	s_mov_b32 s9, -1
                                        ; implicit-def: $vgpr8_vgpr9
.LBB6_1390:
	s_delay_alu instid0(SALU_CYCLE_1)
	s_and_not1_b32 vcc_lo, exec_lo, s9
	s_cbranch_vccnz .LBB6_1392
; %bb.1391:
	global_load_b32 v1, v[2:3], off
	s_wait_loadcnt 0x0
	v_cvt_f64_f32_e32 v[8:9], v1
.LBB6_1392:
	s_mov_b32 s9, 0
.LBB6_1393:
	s_delay_alu instid0(SALU_CYCLE_1)
	s_and_not1_b32 vcc_lo, exec_lo, s9
	s_cbranch_vccnz .LBB6_1395
; %bb.1394:
	global_load_b32 v1, v[2:3], off
	s_wait_loadcnt 0x0
	v_cvt_f32_f16_e32 v1, v1
	s_delay_alu instid0(VALU_DEP_1)
	v_cvt_f64_f32_e32 v[8:9], v1
.LBB6_1395:
	s_mov_b32 s9, 0
.LBB6_1396:
	s_delay_alu instid0(SALU_CYCLE_1)
	s_and_not1_b32 vcc_lo, exec_lo, s9
	s_cbranch_vccnz .LBB6_1407
; %bb.1397:
	s_cmp_lt_i32 s0, 6
	s_cbranch_scc1 .LBB6_1400
; %bb.1398:
	s_cmp_gt_i32 s0, 6
	s_cbranch_scc0 .LBB6_1401
; %bb.1399:
	s_wait_loadcnt 0x0
	global_load_b64 v[8:9], v[2:3], off
	s_mov_b32 s9, 0
	s_branch .LBB6_1402
.LBB6_1400:
	s_mov_b32 s9, -1
                                        ; implicit-def: $vgpr8_vgpr9
	s_branch .LBB6_1405
.LBB6_1401:
	s_mov_b32 s9, -1
                                        ; implicit-def: $vgpr8_vgpr9
.LBB6_1402:
	s_delay_alu instid0(SALU_CYCLE_1)
	s_and_not1_b32 vcc_lo, exec_lo, s9
	s_cbranch_vccnz .LBB6_1404
; %bb.1403:
	global_load_b32 v1, v[2:3], off
	s_wait_loadcnt 0x0
	v_cvt_f64_f32_e32 v[8:9], v1
.LBB6_1404:
	s_mov_b32 s9, 0
.LBB6_1405:
	s_delay_alu instid0(SALU_CYCLE_1)
	s_and_not1_b32 vcc_lo, exec_lo, s9
	s_cbranch_vccnz .LBB6_1407
; %bb.1406:
	global_load_u16 v1, v[2:3], off
	s_wait_loadcnt 0x0
	v_cvt_f32_f16_e32 v1, v1
	s_delay_alu instid0(VALU_DEP_1)
	v_cvt_f64_f32_e32 v[8:9], v1
.LBB6_1407:
	s_mov_b32 s9, 0
.LBB6_1408:
	s_delay_alu instid0(SALU_CYCLE_1)
	s_and_not1_b32 vcc_lo, exec_lo, s9
	s_cbranch_vccnz .LBB6_1428
; %bb.1409:
	s_cmp_lt_i32 s0, 2
	s_cbranch_scc1 .LBB6_1413
; %bb.1410:
	s_cmp_lt_i32 s0, 3
	s_cbranch_scc1 .LBB6_1414
; %bb.1411:
	s_cmp_gt_i32 s0, 3
	s_cbranch_scc0 .LBB6_1415
; %bb.1412:
	s_wait_loadcnt 0x0
	global_load_b64 v[8:9], v[2:3], off
	s_mov_b32 s9, 0
	s_wait_loadcnt 0x0
	v_cvt_f64_i32_e32 v[12:13], v9
	v_cvt_f64_u32_e32 v[8:9], v8
	s_delay_alu instid0(VALU_DEP_2) | instskip(NEXT) | instid1(VALU_DEP_1)
	v_ldexp_f64 v[12:13], v[12:13], 32
	v_add_f64_e32 v[8:9], v[12:13], v[8:9]
	s_branch .LBB6_1416
.LBB6_1413:
	s_mov_b32 s9, -1
                                        ; implicit-def: $vgpr8_vgpr9
	s_branch .LBB6_1422
.LBB6_1414:
	s_mov_b32 s9, -1
                                        ; implicit-def: $vgpr8_vgpr9
	s_branch .LBB6_1419
.LBB6_1415:
	s_mov_b32 s9, -1
                                        ; implicit-def: $vgpr8_vgpr9
.LBB6_1416:
	s_delay_alu instid0(SALU_CYCLE_1)
	s_and_not1_b32 vcc_lo, exec_lo, s9
	s_cbranch_vccnz .LBB6_1418
; %bb.1417:
	global_load_b32 v1, v[2:3], off
	s_wait_loadcnt 0x0
	v_cvt_f64_i32_e32 v[8:9], v1
.LBB6_1418:
	s_mov_b32 s9, 0
.LBB6_1419:
	s_delay_alu instid0(SALU_CYCLE_1)
	s_and_not1_b32 vcc_lo, exec_lo, s9
	s_cbranch_vccnz .LBB6_1421
; %bb.1420:
	global_load_i16 v1, v[2:3], off
	s_wait_loadcnt 0x0
	v_cvt_f64_i32_e32 v[8:9], v1
.LBB6_1421:
	s_mov_b32 s9, 0
.LBB6_1422:
	s_delay_alu instid0(SALU_CYCLE_1)
	s_and_not1_b32 vcc_lo, exec_lo, s9
	s_cbranch_vccnz .LBB6_1428
; %bb.1423:
	s_cmp_gt_i32 s0, 0
	s_mov_b32 s9, 0
	s_cbranch_scc0 .LBB6_1425
; %bb.1424:
	global_load_i8 v1, v[2:3], off
	s_wait_loadcnt 0x0
	v_cvt_f64_i32_e32 v[8:9], v1
	s_branch .LBB6_1426
.LBB6_1425:
	s_mov_b32 s9, -1
                                        ; implicit-def: $vgpr8_vgpr9
.LBB6_1426:
	s_delay_alu instid0(SALU_CYCLE_1)
	s_and_not1_b32 vcc_lo, exec_lo, s9
	s_cbranch_vccnz .LBB6_1428
; %bb.1427:
	global_load_u8 v1, v[2:3], off
	s_wait_loadcnt 0x0
	v_cvt_f64_u32_e32 v[8:9], v1
.LBB6_1428:
.LBB6_1429:
	s_wait_xcnt 0x0
	v_mov_b64_e32 v[2:3], 1.0
	s_mov_b32 s9, exec_lo
	s_wait_loadcnt 0x0
	s_delay_alu instid0(VALU_DEP_2)
	v_cmpx_lt_f64_e32 s[10:11], v[8:9]
	s_cbranch_execz .LBB6_1431
; %bb.1430:
	v_add_f64_e32 v[2:3], 0x3e7ad7f29abcaf48, v[8:9]
	s_delay_alu instid0(VALU_DEP_1) | instskip(NEXT) | instid1(VALU_DEP_1)
	v_div_scale_f64 v[8:9], null, v[2:3], v[2:3], s[10:11]
	v_rcp_f64_e32 v[12:13], v[8:9]
	v_nop
	s_delay_alu instid0(TRANS32_DEP_1) | instskip(NEXT) | instid1(VALU_DEP_1)
	v_fma_f64 v[14:15], -v[8:9], v[12:13], 1.0
	v_fmac_f64_e32 v[12:13], v[12:13], v[14:15]
	s_delay_alu instid0(VALU_DEP_1) | instskip(NEXT) | instid1(VALU_DEP_1)
	v_fma_f64 v[14:15], -v[8:9], v[12:13], 1.0
	v_fmac_f64_e32 v[12:13], v[12:13], v[14:15]
	v_div_scale_f64 v[14:15], vcc_lo, s[10:11], v[2:3], s[10:11]
	s_delay_alu instid0(VALU_DEP_1) | instskip(NEXT) | instid1(VALU_DEP_1)
	v_mul_f64_e32 v[16:17], v[14:15], v[12:13]
	v_fma_f64 v[8:9], -v[8:9], v[16:17], v[14:15]
	s_delay_alu instid0(VALU_DEP_1) | instskip(NEXT) | instid1(VALU_DEP_1)
	v_div_fmas_f64 v[8:9], v[8:9], v[12:13], v[16:17]
	v_div_fixup_f64 v[2:3], v[8:9], v[2:3], s[10:11]
.LBB6_1431:
	s_or_b32 exec_lo, exec_lo, s9
	v_add_nc_u32_e32 v0, s3, v0
	s_cmp_lt_i32 s0, 11
	s_delay_alu instid0(VALU_DEP_1) | instskip(NEXT) | instid1(VALU_DEP_1)
	v_ashrrev_i32_e32 v1, 31, v0
	v_add_nc_u64_e32 v[0:1], s[6:7], v[0:1]
	s_cbranch_scc1 .LBB6_1438
; %bb.1432:
	s_cmp_gt_i32 s0, 25
	s_mov_b32 s6, 0
	s_cbranch_scc0 .LBB6_1439
; %bb.1433:
	s_cmp_gt_i32 s0, 28
	s_cbranch_scc0 .LBB6_1440
; %bb.1434:
	s_cmp_gt_i32 s0, 43
	;; [unrolled: 3-line block ×3, first 2 shown]
	s_cbranch_scc0 .LBB6_1443
; %bb.1436:
	s_cmp_eq_u32 s0, 46
	s_mov_b32 s9, 0
	s_cbranch_scc0 .LBB6_1444
; %bb.1437:
	global_load_b32 v8, v[0:1], off
	s_mov_b32 s3, 0
	s_mov_b32 s7, -1
	s_wait_loadcnt 0x0
	v_lshlrev_b32_e32 v8, 16, v8
	s_delay_alu instid0(VALU_DEP_1)
	v_cvt_f64_f32_e32 v[8:9], v8
	s_branch .LBB6_1446
.LBB6_1438:
	s_mov_b32 s3, -1
	s_mov_b32 s7, 0
                                        ; implicit-def: $vgpr8_vgpr9
	s_branch .LBB6_1512
.LBB6_1439:
	s_mov_b32 s9, -1
	s_mov_b32 s7, 0
	s_mov_b32 s3, 0
                                        ; implicit-def: $vgpr8_vgpr9
	s_branch .LBB6_1475
.LBB6_1440:
	s_mov_b32 s9, -1
	s_mov_b32 s7, 0
	s_mov_b32 s3, 0
                                        ; implicit-def: $vgpr8_vgpr9
	s_branch .LBB6_1456
.LBB6_1441:
	s_mov_b32 s9, -1
	s_mov_b32 s7, 0
	s_mov_b32 s3, 0
                                        ; implicit-def: $vgpr8_vgpr9
	s_branch .LBB6_1451
.LBB6_1442:
	s_or_b32 s1, s1, exec_lo
	s_trap 2
	s_cbranch_execz .LBB6_1379
	s_branch .LBB6_1380
.LBB6_1443:
	s_mov_b32 s9, -1
	s_mov_b32 s7, 0
	s_mov_b32 s3, 0
	s_branch .LBB6_1445
.LBB6_1444:
	s_mov_b32 s3, -1
	s_mov_b32 s7, 0
.LBB6_1445:
                                        ; implicit-def: $vgpr8_vgpr9
.LBB6_1446:
	s_and_b32 vcc_lo, exec_lo, s9
	s_cbranch_vccz .LBB6_1450
; %bb.1447:
	s_cmp_eq_u32 s0, 44
	s_cbranch_scc0 .LBB6_1449
; %bb.1448:
	global_load_u8 v11, v[0:1], off
	s_mov_b32 s3, 0
	s_mov_b32 s7, -1
	s_wait_loadcnt 0x0
	v_cmp_ne_u32_e32 vcc_lo, 0xff, v11
	v_lshlrev_b32_e32 v8, 23, v11
	s_delay_alu instid0(VALU_DEP_1) | instskip(NEXT) | instid1(VALU_DEP_1)
	v_cvt_f64_f32_e32 v[8:9], v8
	v_cndmask_b32_e32 v8, 0x20000000, v8, vcc_lo
	s_delay_alu instid0(VALU_DEP_2) | instskip(SKIP_1) | instid1(VALU_DEP_2)
	v_cndmask_b32_e32 v9, 0x7ff80000, v9, vcc_lo
	v_cmp_ne_u32_e32 vcc_lo, 0, v11
	v_cndmask_b32_e32 v9, 0x38000000, v9, vcc_lo
	s_delay_alu instid0(VALU_DEP_4)
	v_cndmask_b32_e32 v8, 0, v8, vcc_lo
	s_branch .LBB6_1450
.LBB6_1449:
	s_mov_b32 s3, -1
                                        ; implicit-def: $vgpr8_vgpr9
.LBB6_1450:
	s_mov_b32 s9, 0
.LBB6_1451:
	s_delay_alu instid0(SALU_CYCLE_1)
	s_and_b32 vcc_lo, exec_lo, s9
	s_cbranch_vccz .LBB6_1455
; %bb.1452:
	s_cmp_eq_u32 s0, 29
	s_cbranch_scc0 .LBB6_1454
; %bb.1453:
	global_load_b64 v[8:9], v[0:1], off
	s_mov_b32 s3, 0
	s_mov_b32 s7, -1
	s_mov_b32 s9, 0
	s_wait_loadcnt 0x0
	v_cvt_f64_u32_e32 v[12:13], v9
	v_cvt_f64_u32_e32 v[8:9], v8
	s_delay_alu instid0(VALU_DEP_2) | instskip(NEXT) | instid1(VALU_DEP_1)
	v_ldexp_f64 v[12:13], v[12:13], 32
	v_add_f64_e32 v[8:9], v[12:13], v[8:9]
	s_branch .LBB6_1456
.LBB6_1454:
	s_mov_b32 s3, -1
                                        ; implicit-def: $vgpr8_vgpr9
.LBB6_1455:
	s_mov_b32 s9, 0
.LBB6_1456:
	s_delay_alu instid0(SALU_CYCLE_1)
	s_and_b32 vcc_lo, exec_lo, s9
	s_cbranch_vccz .LBB6_1474
; %bb.1457:
	s_cmp_lt_i32 s0, 27
	s_cbranch_scc1 .LBB6_1460
; %bb.1458:
	s_cmp_gt_i32 s0, 27
	s_cbranch_scc0 .LBB6_1461
; %bb.1459:
	global_load_b32 v8, v[0:1], off
	s_mov_b32 s7, 0
	s_wait_loadcnt 0x0
	v_cvt_f64_u32_e32 v[8:9], v8
	s_branch .LBB6_1462
.LBB6_1460:
	s_mov_b32 s7, -1
                                        ; implicit-def: $vgpr8_vgpr9
	s_branch .LBB6_1465
.LBB6_1461:
	s_mov_b32 s7, -1
                                        ; implicit-def: $vgpr8_vgpr9
.LBB6_1462:
	s_delay_alu instid0(SALU_CYCLE_1)
	s_and_not1_b32 vcc_lo, exec_lo, s7
	s_cbranch_vccnz .LBB6_1464
; %bb.1463:
	global_load_u16 v8, v[0:1], off
	s_wait_loadcnt 0x0
	v_cvt_f64_u32_e32 v[8:9], v8
.LBB6_1464:
	s_mov_b32 s7, 0
.LBB6_1465:
	s_delay_alu instid0(SALU_CYCLE_1)
	s_and_not1_b32 vcc_lo, exec_lo, s7
	s_cbranch_vccnz .LBB6_1473
; %bb.1466:
	global_load_u8 v11, v[0:1], off
	s_mov_b32 s7, 0
	s_mov_b32 s9, exec_lo
	s_wait_loadcnt 0x0
	v_cmpx_lt_i16_e32 0x7f, v11
	s_xor_b32 s9, exec_lo, s9
	s_cbranch_execz .LBB6_1487
; %bb.1467:
	s_mov_b32 s7, -1
	s_mov_b32 s14, exec_lo
	v_cmpx_eq_u16_e32 0x80, v11
; %bb.1468:
	s_xor_b32 s7, exec_lo, -1
; %bb.1469:
	s_or_b32 exec_lo, exec_lo, s14
	s_delay_alu instid0(SALU_CYCLE_1)
	s_and_b32 s7, s7, exec_lo
	s_or_saveexec_b32 s9, s9
	v_mov_b64_e32 v[8:9], 0x7ff8000020000000
	s_xor_b32 exec_lo, exec_lo, s9
	s_cbranch_execnz .LBB6_1488
.LBB6_1470:
	s_or_b32 exec_lo, exec_lo, s9
	s_and_saveexec_b32 s9, s7
	s_cbranch_execz .LBB6_1472
.LBB6_1471:
	v_and_b32_e32 v8, 0xffff, v11
	s_delay_alu instid0(VALU_DEP_1) | instskip(SKIP_1) | instid1(VALU_DEP_2)
	v_dual_lshlrev_b32 v11, 24, v11 :: v_dual_bitop2_b32 v9, 7, v8 bitop3:0x40
	v_bfe_u32 v14, v8, 3, 4
	v_clz_i32_u32_e32 v12, v9
	s_delay_alu instid0(VALU_DEP_2) | instskip(NEXT) | instid1(VALU_DEP_2)
	v_cmp_eq_u32_e32 vcc_lo, 0, v14
	v_min_u32_e32 v12, 32, v12
	s_delay_alu instid0(VALU_DEP_1) | instskip(SKIP_1) | instid1(VALU_DEP_2)
	v_subrev_nc_u32_e32 v13, 28, v12
	v_sub_nc_u32_e32 v12, 29, v12
	v_lshlrev_b32_e32 v8, v13, v8
	s_delay_alu instid0(VALU_DEP_2) | instskip(NEXT) | instid1(VALU_DEP_2)
	v_cndmask_b32_e32 v12, v14, v12, vcc_lo
	v_and_b32_e32 v8, 7, v8
	s_delay_alu instid0(VALU_DEP_1) | instskip(SKIP_1) | instid1(VALU_DEP_4)
	v_cndmask_b32_e32 v8, v9, v8, vcc_lo
	v_and_b32_e32 v9, 0x80000000, v11
	v_lshl_add_u32 v11, v12, 23, 0x3b800000
	s_delay_alu instid0(VALU_DEP_3) | instskip(NEXT) | instid1(VALU_DEP_1)
	v_lshlrev_b32_e32 v8, 20, v8
	v_or3_b32 v8, v9, v11, v8
	s_delay_alu instid0(VALU_DEP_1)
	v_cvt_f64_f32_e32 v[8:9], v8
.LBB6_1472:
	s_or_b32 exec_lo, exec_lo, s9
.LBB6_1473:
	s_mov_b32 s7, -1
.LBB6_1474:
	s_mov_b32 s9, 0
.LBB6_1475:
	s_delay_alu instid0(SALU_CYCLE_1)
	s_and_b32 vcc_lo, exec_lo, s9
	s_cbranch_vccz .LBB6_1508
; %bb.1476:
	s_cmp_gt_i32 s0, 22
	s_cbranch_scc0 .LBB6_1486
; %bb.1477:
	s_cmp_lt_i32 s0, 24
	s_cbranch_scc1 .LBB6_1489
; %bb.1478:
	s_cmp_gt_i32 s0, 24
	s_cbranch_scc0 .LBB6_1490
; %bb.1479:
	global_load_u8 v11, v[0:1], off
	s_mov_b32 s7, exec_lo
	s_wait_loadcnt 0x0
	v_cmpx_lt_i16_e32 0x7f, v11
	s_xor_b32 s7, exec_lo, s7
	s_cbranch_execz .LBB6_1502
; %bb.1480:
	s_mov_b32 s6, -1
	s_mov_b32 s9, exec_lo
	v_cmpx_eq_u16_e32 0x80, v11
; %bb.1481:
	s_xor_b32 s6, exec_lo, -1
; %bb.1482:
	s_or_b32 exec_lo, exec_lo, s9
	s_delay_alu instid0(SALU_CYCLE_1)
	s_and_b32 s6, s6, exec_lo
	s_or_saveexec_b32 s7, s7
	v_mov_b64_e32 v[8:9], 0x7ff8000020000000
	s_xor_b32 exec_lo, exec_lo, s7
	s_cbranch_execnz .LBB6_1503
.LBB6_1483:
	s_or_b32 exec_lo, exec_lo, s7
	s_and_saveexec_b32 s7, s6
	s_cbranch_execz .LBB6_1485
.LBB6_1484:
	v_and_b32_e32 v8, 0xffff, v11
	s_delay_alu instid0(VALU_DEP_1) | instskip(SKIP_1) | instid1(VALU_DEP_2)
	v_dual_lshlrev_b32 v11, 24, v11 :: v_dual_bitop2_b32 v9, 3, v8 bitop3:0x40
	v_bfe_u32 v14, v8, 2, 5
	v_clz_i32_u32_e32 v12, v9
	s_delay_alu instid0(VALU_DEP_2) | instskip(NEXT) | instid1(VALU_DEP_2)
	v_cmp_eq_u32_e32 vcc_lo, 0, v14
	v_min_u32_e32 v12, 32, v12
	s_delay_alu instid0(VALU_DEP_1) | instskip(SKIP_1) | instid1(VALU_DEP_2)
	v_subrev_nc_u32_e32 v13, 29, v12
	v_sub_nc_u32_e32 v12, 30, v12
	v_lshlrev_b32_e32 v8, v13, v8
	s_delay_alu instid0(VALU_DEP_2) | instskip(NEXT) | instid1(VALU_DEP_2)
	v_cndmask_b32_e32 v12, v14, v12, vcc_lo
	v_and_b32_e32 v8, 3, v8
	s_delay_alu instid0(VALU_DEP_1) | instskip(SKIP_1) | instid1(VALU_DEP_4)
	v_cndmask_b32_e32 v8, v9, v8, vcc_lo
	v_and_b32_e32 v9, 0x80000000, v11
	v_lshl_add_u32 v11, v12, 23, 0x37800000
	s_delay_alu instid0(VALU_DEP_3) | instskip(NEXT) | instid1(VALU_DEP_1)
	v_lshlrev_b32_e32 v8, 21, v8
	v_or3_b32 v8, v9, v11, v8
	s_delay_alu instid0(VALU_DEP_1)
	v_cvt_f64_f32_e32 v[8:9], v8
.LBB6_1485:
	s_or_b32 exec_lo, exec_lo, s7
	s_mov_b32 s6, 0
	s_branch .LBB6_1491
.LBB6_1486:
	s_mov_b32 s6, -1
                                        ; implicit-def: $vgpr8_vgpr9
	s_branch .LBB6_1497
.LBB6_1487:
	s_or_saveexec_b32 s9, s9
	v_mov_b64_e32 v[8:9], 0x7ff8000020000000
	s_xor_b32 exec_lo, exec_lo, s9
	s_cbranch_execz .LBB6_1470
.LBB6_1488:
	v_cmp_ne_u16_e32 vcc_lo, 0, v11
	v_mov_b64_e32 v[8:9], 0
	s_and_not1_b32 s7, s7, exec_lo
	s_and_b32 s14, vcc_lo, exec_lo
	s_delay_alu instid0(SALU_CYCLE_1)
	s_or_b32 s7, s7, s14
	s_or_b32 exec_lo, exec_lo, s9
	s_and_saveexec_b32 s9, s7
	s_cbranch_execnz .LBB6_1471
	s_branch .LBB6_1472
.LBB6_1489:
	s_mov_b32 s6, -1
                                        ; implicit-def: $vgpr8_vgpr9
	s_branch .LBB6_1494
.LBB6_1490:
	s_mov_b32 s6, -1
                                        ; implicit-def: $vgpr8_vgpr9
.LBB6_1491:
	s_delay_alu instid0(SALU_CYCLE_1)
	s_and_b32 vcc_lo, exec_lo, s6
	s_cbranch_vccz .LBB6_1493
; %bb.1492:
	global_load_u8 v8, v[0:1], off
	s_wait_loadcnt 0x0
	v_lshlrev_b32_e32 v8, 24, v8
	s_delay_alu instid0(VALU_DEP_1) | instskip(NEXT) | instid1(VALU_DEP_1)
	v_and_b32_e32 v9, 0x7f000000, v8
	v_clz_i32_u32_e32 v11, v9
	v_add_nc_u32_e32 v13, 0x1000000, v9
	v_cmp_ne_u32_e32 vcc_lo, 0, v9
	s_delay_alu instid0(VALU_DEP_3) | instskip(NEXT) | instid1(VALU_DEP_1)
	v_min_u32_e32 v11, 32, v11
	v_sub_nc_u32_e64 v11, v11, 4 clamp
	s_delay_alu instid0(VALU_DEP_1) | instskip(NEXT) | instid1(VALU_DEP_1)
	v_dual_lshlrev_b32 v12, v11, v9 :: v_dual_lshlrev_b32 v11, 23, v11
	v_lshrrev_b32_e32 v12, 4, v12
	s_delay_alu instid0(VALU_DEP_1) | instskip(NEXT) | instid1(VALU_DEP_1)
	v_dual_sub_nc_u32 v11, v12, v11 :: v_dual_ashrrev_i32 v12, 8, v13
	v_add_nc_u32_e32 v11, 0x3c000000, v11
	s_delay_alu instid0(VALU_DEP_1) | instskip(NEXT) | instid1(VALU_DEP_1)
	v_and_or_b32 v11, 0x7f800000, v12, v11
	v_cndmask_b32_e32 v9, 0, v11, vcc_lo
	s_delay_alu instid0(VALU_DEP_1) | instskip(NEXT) | instid1(VALU_DEP_1)
	v_and_or_b32 v8, 0x80000000, v8, v9
	v_cvt_f64_f32_e32 v[8:9], v8
.LBB6_1493:
	s_mov_b32 s6, 0
.LBB6_1494:
	s_delay_alu instid0(SALU_CYCLE_1)
	s_and_not1_b32 vcc_lo, exec_lo, s6
	s_cbranch_vccnz .LBB6_1496
; %bb.1495:
	global_load_u8 v8, v[0:1], off
	s_wait_loadcnt 0x0
	v_lshlrev_b32_e32 v9, 25, v8
	v_lshlrev_b16 v8, 8, v8
	s_delay_alu instid0(VALU_DEP_2) | instskip(NEXT) | instid1(VALU_DEP_2)
	v_cmp_gt_u32_e32 vcc_lo, 0x8000000, v9
	v_and_or_b32 v12, 0x7f00, v8, 0.5
	v_lshrrev_b32_e32 v11, 4, v9
	v_bfe_i32 v8, v8, 0, 16
	s_delay_alu instid0(VALU_DEP_3) | instskip(NEXT) | instid1(VALU_DEP_3)
	v_add_f32_e32 v12, -0.5, v12
	v_or_b32_e32 v11, 0x70000000, v11
	s_delay_alu instid0(VALU_DEP_1) | instskip(NEXT) | instid1(VALU_DEP_1)
	v_mul_f32_e32 v11, 0x7800000, v11
	v_cndmask_b32_e32 v9, v11, v12, vcc_lo
	s_delay_alu instid0(VALU_DEP_1) | instskip(NEXT) | instid1(VALU_DEP_1)
	v_and_or_b32 v8, 0x80000000, v8, v9
	v_cvt_f64_f32_e32 v[8:9], v8
.LBB6_1496:
	s_mov_b32 s6, 0
	s_mov_b32 s7, -1
.LBB6_1497:
	s_and_not1_b32 vcc_lo, exec_lo, s6
	s_mov_b32 s6, 0
	s_cbranch_vccnz .LBB6_1508
; %bb.1498:
	s_cmp_gt_i32 s0, 14
	s_cbranch_scc0 .LBB6_1501
; %bb.1499:
	s_cmp_eq_u32 s0, 15
	s_cbranch_scc0 .LBB6_1504
; %bb.1500:
	global_load_u16 v8, v[0:1], off
	s_mov_b32 s3, 0
	s_mov_b32 s7, -1
	s_wait_loadcnt 0x0
	v_lshlrev_b32_e32 v8, 16, v8
	s_delay_alu instid0(VALU_DEP_1)
	v_cvt_f64_f32_e32 v[8:9], v8
	s_branch .LBB6_1506
.LBB6_1501:
	s_mov_b32 s6, -1
	s_branch .LBB6_1505
.LBB6_1502:
	s_or_saveexec_b32 s7, s7
	v_mov_b64_e32 v[8:9], 0x7ff8000020000000
	s_xor_b32 exec_lo, exec_lo, s7
	s_cbranch_execz .LBB6_1483
.LBB6_1503:
	v_cmp_ne_u16_e32 vcc_lo, 0, v11
	v_mov_b64_e32 v[8:9], 0
	s_and_not1_b32 s6, s6, exec_lo
	s_and_b32 s9, vcc_lo, exec_lo
	s_delay_alu instid0(SALU_CYCLE_1)
	s_or_b32 s6, s6, s9
	s_or_b32 exec_lo, exec_lo, s7
	s_and_saveexec_b32 s7, s6
	s_cbranch_execnz .LBB6_1484
	s_branch .LBB6_1485
.LBB6_1504:
	s_mov_b32 s3, -1
.LBB6_1505:
                                        ; implicit-def: $vgpr8_vgpr9
.LBB6_1506:
	s_and_b32 vcc_lo, exec_lo, s6
	s_mov_b32 s6, 0
	s_cbranch_vccz .LBB6_1508
; %bb.1507:
	s_cmp_lg_u32 s0, 11
	s_mov_b32 s6, -1
	s_cselect_b32 s3, -1, 0
.LBB6_1508:
	s_delay_alu instid0(SALU_CYCLE_1)
	s_and_b32 vcc_lo, exec_lo, s3
	s_cbranch_vccnz .LBB6_2044
; %bb.1509:
	s_and_not1_b32 vcc_lo, exec_lo, s6
	s_cbranch_vccnz .LBB6_1511
.LBB6_1510:
	global_load_u8 v8, v[0:1], off
	s_mov_b32 s7, -1
	s_wait_loadcnt 0x0
	v_cmp_ne_u16_e32 vcc_lo, 0, v8
	v_mov_b32_e32 v8, 0
	v_cndmask_b32_e64 v9, 0, 0x3ff00000, vcc_lo
.LBB6_1511:
	s_mov_b32 s3, 0
.LBB6_1512:
	s_delay_alu instid0(SALU_CYCLE_1)
	s_and_b32 vcc_lo, exec_lo, s3
	s_cbranch_vccz .LBB6_1561
; %bb.1513:
	s_cmp_lt_i32 s0, 5
	s_cbranch_scc1 .LBB6_1518
; %bb.1514:
	s_cmp_lt_i32 s0, 8
	s_cbranch_scc1 .LBB6_1519
	;; [unrolled: 3-line block ×3, first 2 shown]
; %bb.1516:
	s_cmp_gt_i32 s0, 9
	s_cbranch_scc0 .LBB6_1521
; %bb.1517:
	global_load_b64 v[8:9], v[0:1], off
	s_mov_b32 s3, 0
	s_branch .LBB6_1522
.LBB6_1518:
	s_mov_b32 s3, -1
                                        ; implicit-def: $vgpr8_vgpr9
	s_branch .LBB6_1540
.LBB6_1519:
	s_mov_b32 s3, -1
                                        ; implicit-def: $vgpr8_vgpr9
	s_branch .LBB6_1528
.LBB6_1520:
	s_mov_b32 s3, -1
                                        ; implicit-def: $vgpr8_vgpr9
	s_branch .LBB6_1525
.LBB6_1521:
	s_mov_b32 s3, -1
                                        ; implicit-def: $vgpr8_vgpr9
.LBB6_1522:
	s_delay_alu instid0(SALU_CYCLE_1)
	s_and_not1_b32 vcc_lo, exec_lo, s3
	s_cbranch_vccnz .LBB6_1524
; %bb.1523:
	s_wait_loadcnt 0x0
	global_load_b32 v8, v[0:1], off
	s_wait_loadcnt 0x0
	v_cvt_f64_f32_e32 v[8:9], v8
.LBB6_1524:
	s_mov_b32 s3, 0
.LBB6_1525:
	s_delay_alu instid0(SALU_CYCLE_1)
	s_and_not1_b32 vcc_lo, exec_lo, s3
	s_cbranch_vccnz .LBB6_1527
; %bb.1526:
	s_wait_loadcnt 0x0
	global_load_b32 v8, v[0:1], off
	s_wait_loadcnt 0x0
	v_cvt_f32_f16_e32 v8, v8
	s_delay_alu instid0(VALU_DEP_1)
	v_cvt_f64_f32_e32 v[8:9], v8
.LBB6_1527:
	s_mov_b32 s3, 0
.LBB6_1528:
	s_delay_alu instid0(SALU_CYCLE_1)
	s_and_not1_b32 vcc_lo, exec_lo, s3
	s_cbranch_vccnz .LBB6_1539
; %bb.1529:
	s_cmp_lt_i32 s0, 6
	s_cbranch_scc1 .LBB6_1532
; %bb.1530:
	s_cmp_gt_i32 s0, 6
	s_cbranch_scc0 .LBB6_1533
; %bb.1531:
	s_wait_loadcnt 0x0
	global_load_b64 v[8:9], v[0:1], off
	s_mov_b32 s3, 0
	s_branch .LBB6_1534
.LBB6_1532:
	s_mov_b32 s3, -1
                                        ; implicit-def: $vgpr8_vgpr9
	s_branch .LBB6_1537
.LBB6_1533:
	s_mov_b32 s3, -1
                                        ; implicit-def: $vgpr8_vgpr9
.LBB6_1534:
	s_delay_alu instid0(SALU_CYCLE_1)
	s_and_not1_b32 vcc_lo, exec_lo, s3
	s_cbranch_vccnz .LBB6_1536
; %bb.1535:
	s_wait_loadcnt 0x0
	global_load_b32 v8, v[0:1], off
	s_wait_loadcnt 0x0
	v_cvt_f64_f32_e32 v[8:9], v8
.LBB6_1536:
	s_mov_b32 s3, 0
.LBB6_1537:
	s_delay_alu instid0(SALU_CYCLE_1)
	s_and_not1_b32 vcc_lo, exec_lo, s3
	s_cbranch_vccnz .LBB6_1539
; %bb.1538:
	s_wait_loadcnt 0x0
	global_load_u16 v8, v[0:1], off
	s_wait_loadcnt 0x0
	v_cvt_f32_f16_e32 v8, v8
	s_delay_alu instid0(VALU_DEP_1)
	v_cvt_f64_f32_e32 v[8:9], v8
.LBB6_1539:
	s_mov_b32 s3, 0
.LBB6_1540:
	s_delay_alu instid0(SALU_CYCLE_1)
	s_and_not1_b32 vcc_lo, exec_lo, s3
	s_cbranch_vccnz .LBB6_1560
; %bb.1541:
	s_cmp_lt_i32 s0, 2
	s_cbranch_scc1 .LBB6_1545
; %bb.1542:
	s_cmp_lt_i32 s0, 3
	s_cbranch_scc1 .LBB6_1546
; %bb.1543:
	s_cmp_gt_i32 s0, 3
	s_cbranch_scc0 .LBB6_1547
; %bb.1544:
	s_wait_loadcnt 0x0
	global_load_b64 v[8:9], v[0:1], off
	s_mov_b32 s3, 0
	s_wait_loadcnt 0x0
	v_cvt_f64_i32_e32 v[12:13], v9
	v_cvt_f64_u32_e32 v[8:9], v8
	s_delay_alu instid0(VALU_DEP_2) | instskip(NEXT) | instid1(VALU_DEP_1)
	v_ldexp_f64 v[12:13], v[12:13], 32
	v_add_f64_e32 v[8:9], v[12:13], v[8:9]
	s_branch .LBB6_1548
.LBB6_1545:
	s_mov_b32 s3, -1
                                        ; implicit-def: $vgpr8_vgpr9
	s_branch .LBB6_1554
.LBB6_1546:
	s_mov_b32 s3, -1
                                        ; implicit-def: $vgpr8_vgpr9
	s_branch .LBB6_1551
.LBB6_1547:
	s_mov_b32 s3, -1
                                        ; implicit-def: $vgpr8_vgpr9
.LBB6_1548:
	s_delay_alu instid0(SALU_CYCLE_1)
	s_and_not1_b32 vcc_lo, exec_lo, s3
	s_cbranch_vccnz .LBB6_1550
; %bb.1549:
	s_wait_loadcnt 0x0
	global_load_b32 v8, v[0:1], off
	s_wait_loadcnt 0x0
	v_cvt_f64_i32_e32 v[8:9], v8
.LBB6_1550:
	s_mov_b32 s3, 0
.LBB6_1551:
	s_delay_alu instid0(SALU_CYCLE_1)
	s_and_not1_b32 vcc_lo, exec_lo, s3
	s_cbranch_vccnz .LBB6_1553
; %bb.1552:
	s_wait_loadcnt 0x0
	global_load_i16 v8, v[0:1], off
	s_wait_loadcnt 0x0
	v_cvt_f64_i32_e32 v[8:9], v8
.LBB6_1553:
	s_mov_b32 s3, 0
.LBB6_1554:
	s_delay_alu instid0(SALU_CYCLE_1)
	s_and_not1_b32 vcc_lo, exec_lo, s3
	s_cbranch_vccnz .LBB6_1560
; %bb.1555:
	s_cmp_gt_i32 s0, 0
	s_mov_b32 s0, 0
	s_cbranch_scc0 .LBB6_1557
; %bb.1556:
	s_wait_loadcnt 0x0
	global_load_i8 v8, v[0:1], off
	s_wait_loadcnt 0x0
	v_cvt_f64_i32_e32 v[8:9], v8
	s_branch .LBB6_1558
.LBB6_1557:
	s_mov_b32 s0, -1
                                        ; implicit-def: $vgpr8_vgpr9
.LBB6_1558:
	s_delay_alu instid0(SALU_CYCLE_1)
	s_and_not1_b32 vcc_lo, exec_lo, s0
	s_cbranch_vccnz .LBB6_1560
; %bb.1559:
	global_load_u8 v0, v[0:1], off
	s_wait_loadcnt 0x0
	v_cvt_f64_u32_e32 v[8:9], v0
.LBB6_1560:
	s_mov_b32 s7, -1
.LBB6_1561:
	s_delay_alu instid0(SALU_CYCLE_1)
	s_and_not1_b32 vcc_lo, exec_lo, s7
	s_cbranch_vccnz .LBB6_1642
; %bb.1562:
	s_wait_xcnt 0x0
	v_mov_b64_e32 v[0:1], 1.0
	s_mov_b32 s0, exec_lo
	s_wait_loadcnt 0x0
	s_delay_alu instid0(VALU_DEP_2)
	v_cmpx_lt_f64_e32 s[10:11], v[8:9]
	s_cbranch_execz .LBB6_1564
; %bb.1563:
	v_add_f64_e32 v[0:1], 0x3e7ad7f29abcaf48, v[8:9]
	s_delay_alu instid0(VALU_DEP_1) | instskip(NEXT) | instid1(VALU_DEP_1)
	v_div_scale_f64 v[8:9], null, v[0:1], v[0:1], s[10:11]
	v_rcp_f64_e32 v[12:13], v[8:9]
	v_nop
	s_delay_alu instid0(TRANS32_DEP_1) | instskip(NEXT) | instid1(VALU_DEP_1)
	v_fma_f64 v[14:15], -v[8:9], v[12:13], 1.0
	v_fmac_f64_e32 v[12:13], v[12:13], v[14:15]
	s_delay_alu instid0(VALU_DEP_1) | instskip(NEXT) | instid1(VALU_DEP_1)
	v_fma_f64 v[14:15], -v[8:9], v[12:13], 1.0
	v_fmac_f64_e32 v[12:13], v[12:13], v[14:15]
	v_div_scale_f64 v[14:15], vcc_lo, s[10:11], v[0:1], s[10:11]
	s_delay_alu instid0(VALU_DEP_1) | instskip(NEXT) | instid1(VALU_DEP_1)
	v_mul_f64_e32 v[16:17], v[14:15], v[12:13]
	v_fma_f64 v[8:9], -v[8:9], v[16:17], v[14:15]
	s_delay_alu instid0(VALU_DEP_1) | instskip(NEXT) | instid1(VALU_DEP_1)
	v_div_fmas_f64 v[8:9], v[8:9], v[12:13], v[16:17]
	v_div_fixup_f64 v[0:1], v[8:9], v[0:1], s[10:11]
.LBB6_1564:
	s_or_b32 exec_lo, exec_lo, s0
	v_mul_lo_u32 v10, s8, v10
	s_and_b32 s14, s2, 0xff
	s_delay_alu instid0(SALU_CYCLE_1) | instskip(NEXT) | instid1(VALU_DEP_1)
	s_cmp_lt_i32 s14, 11
	v_ashrrev_i32_e32 v11, 31, v10
	s_delay_alu instid0(VALU_DEP_1)
	v_add_nc_u64_e32 v[12:13], s[4:5], v[10:11]
	s_cbranch_scc1 .LBB6_1687
; %bb.1565:
	s_and_b32 s2, 0xffff, s14
	s_mov_b32 s7, -1
	s_mov_b32 s3, 0
	s_cmp_gt_i32 s2, 25
	s_mov_b32 s6, 0
	s_mov_b32 s0, 0
	s_cbranch_scc0 .LBB6_1598
; %bb.1566:
	s_cmp_gt_i32 s2, 28
	s_cbranch_scc0 .LBB6_1581
; %bb.1567:
	s_cmp_gt_i32 s2, 43
	;; [unrolled: 3-line block ×3, first 2 shown]
	s_cbranch_scc0 .LBB6_1571
; %bb.1569:
	s_mov_b32 s0, -1
	s_mov_b32 s7, 0
	s_cmp_eq_u32 s2, 46
	s_cbranch_scc0 .LBB6_1571
; %bb.1570:
	v_cvt_f32_f64_e32 v8, v[6:7]
	s_mov_b32 s0, 0
	s_mov_b32 s6, -1
	s_delay_alu instid0(VALU_DEP_1) | instskip(SKIP_1) | instid1(VALU_DEP_2)
	v_bfe_u32 v9, v8, 16, 1
	v_cmp_o_f32_e32 vcc_lo, v8, v8
	v_add3_u32 v9, v8, v9, 0x7fff
	s_delay_alu instid0(VALU_DEP_1) | instskip(NEXT) | instid1(VALU_DEP_1)
	v_lshrrev_b32_e32 v9, 16, v9
	v_cndmask_b32_e32 v8, 0x7fc0, v9, vcc_lo
	global_store_b32 v[12:13], v8, off
.LBB6_1571:
	s_and_b32 vcc_lo, exec_lo, s7
	s_cbranch_vccz .LBB6_1576
; %bb.1572:
	s_cmp_eq_u32 s2, 44
	s_mov_b32 s0, -1
	s_cbranch_scc0 .LBB6_1576
; %bb.1573:
	s_wait_xcnt 0x0
	v_cvt_f32_f64_e32 v8, v[6:7]
	v_mov_b32_e32 v9, 0xff
	s_mov_b32 s6, exec_lo
	s_delay_alu instid0(VALU_DEP_2) | instskip(NEXT) | instid1(VALU_DEP_1)
	v_bfe_u32 v11, v8, 23, 8
	v_cmpx_ne_u32_e32 0xff, v11
	s_cbranch_execz .LBB6_1575
; %bb.1574:
	v_and_b32_e32 v9, 0x400000, v8
	v_and_or_b32 v11, 0x3fffff, v8, v11
	v_lshrrev_b32_e32 v8, 23, v8
	s_delay_alu instid0(VALU_DEP_3) | instskip(NEXT) | instid1(VALU_DEP_3)
	v_cmp_ne_u32_e32 vcc_lo, 0, v9
	v_cmp_ne_u32_e64 s0, 0, v11
	s_and_b32 s0, vcc_lo, s0
	s_delay_alu instid0(SALU_CYCLE_1) | instskip(NEXT) | instid1(VALU_DEP_1)
	v_cndmask_b32_e64 v9, 0, 1, s0
	v_add_nc_u32_e32 v9, v8, v9
.LBB6_1575:
	s_or_b32 exec_lo, exec_lo, s6
	s_mov_b32 s0, 0
	s_mov_b32 s6, -1
	global_store_b8 v[12:13], v9, off
.LBB6_1576:
	s_mov_b32 s7, 0
.LBB6_1577:
	s_delay_alu instid0(SALU_CYCLE_1)
	s_and_b32 vcc_lo, exec_lo, s7
	s_cbranch_vccz .LBB6_1580
; %bb.1578:
	s_cmp_eq_u32 s2, 29
	s_mov_b32 s0, -1
	s_cbranch_scc0 .LBB6_1580
; %bb.1579:
	s_wait_xcnt 0x0
	v_trunc_f64_e32 v[8:9], v[6:7]
	s_mov_b32 s0, 0
	s_mov_b32 s6, -1
	s_delay_alu instid0(VALU_DEP_1) | instskip(NEXT) | instid1(VALU_DEP_1)
	v_ldexp_f64 v[14:15], v[8:9], 0xffffffe0
	v_floor_f64_e32 v[14:15], v[14:15]
	s_delay_alu instid0(VALU_DEP_1) | instskip(SKIP_1) | instid1(VALU_DEP_2)
	v_fmamk_f64 v[8:9], v[14:15], 0xc1f00000, v[8:9]
	v_cvt_u32_f64_e32 v15, v[14:15]
	v_cvt_u32_f64_e32 v14, v[8:9]
	global_store_b64 v[12:13], v[14:15], off
.LBB6_1580:
	s_mov_b32 s7, 0
.LBB6_1581:
	s_delay_alu instid0(SALU_CYCLE_1)
	s_and_b32 vcc_lo, exec_lo, s7
	s_cbranch_vccz .LBB6_1597
; %bb.1582:
	s_cmp_lt_i32 s2, 27
	s_mov_b32 s6, -1
	s_cbranch_scc1 .LBB6_1588
; %bb.1583:
	s_wait_xcnt 0x0
	v_cvt_u32_f64_e32 v8, v[6:7]
	s_cmp_gt_i32 s2, 27
	s_cbranch_scc0 .LBB6_1585
; %bb.1584:
	s_mov_b32 s6, 0
	global_store_b32 v[12:13], v8, off
.LBB6_1585:
	s_and_not1_b32 vcc_lo, exec_lo, s6
	s_cbranch_vccnz .LBB6_1587
; %bb.1586:
	global_store_b16 v[12:13], v8, off
.LBB6_1587:
	s_mov_b32 s6, 0
.LBB6_1588:
	s_delay_alu instid0(SALU_CYCLE_1)
	s_and_not1_b32 vcc_lo, exec_lo, s6
	s_cbranch_vccnz .LBB6_1596
; %bb.1589:
	s_wait_xcnt 0x0
	v_cvt_f32_f64_e32 v8, v[6:7]
	v_mov_b32_e32 v11, 0x80
	s_mov_b32 s6, exec_lo
	s_delay_alu instid0(VALU_DEP_2) | instskip(NEXT) | instid1(VALU_DEP_1)
	v_and_b32_e32 v9, 0x7fffffff, v8
	v_cmpx_gt_u32_e32 0x43800000, v9
	s_cbranch_execz .LBB6_1595
; %bb.1590:
	v_cmp_lt_u32_e32 vcc_lo, 0x3bffffff, v9
	s_mov_b32 s7, 0
                                        ; implicit-def: $vgpr9
	s_and_saveexec_b32 s9, vcc_lo
	s_delay_alu instid0(SALU_CYCLE_1)
	s_xor_b32 s9, exec_lo, s9
	s_cbranch_execz .LBB6_2045
; %bb.1591:
	v_bfe_u32 v9, v8, 20, 1
	s_mov_b32 s7, exec_lo
	s_delay_alu instid0(VALU_DEP_1) | instskip(NEXT) | instid1(VALU_DEP_1)
	v_add3_u32 v9, v8, v9, 0x487ffff
	v_lshrrev_b32_e32 v9, 20, v9
	s_and_not1_saveexec_b32 s9, s9
	s_cbranch_execnz .LBB6_2046
.LBB6_1592:
	s_or_b32 exec_lo, exec_lo, s9
	v_mov_b32_e32 v11, 0
	s_and_saveexec_b32 s9, s7
.LBB6_1593:
	v_lshrrev_b32_e32 v8, 24, v8
	s_delay_alu instid0(VALU_DEP_1)
	v_and_or_b32 v11, 0x80, v8, v9
.LBB6_1594:
	s_or_b32 exec_lo, exec_lo, s9
.LBB6_1595:
	s_delay_alu instid0(SALU_CYCLE_1)
	s_or_b32 exec_lo, exec_lo, s6
	global_store_b8 v[12:13], v11, off
.LBB6_1596:
	s_mov_b32 s6, -1
.LBB6_1597:
	s_mov_b32 s7, 0
.LBB6_1598:
	s_delay_alu instid0(SALU_CYCLE_1)
	s_and_b32 vcc_lo, exec_lo, s7
	s_cbranch_vccz .LBB6_1638
; %bb.1599:
	s_cmp_gt_i32 s2, 22
	s_mov_b32 s3, -1
	s_cbranch_scc0 .LBB6_1631
; %bb.1600:
	s_cmp_lt_i32 s2, 24
	s_cbranch_scc1 .LBB6_1620
; %bb.1601:
	s_cmp_gt_i32 s2, 24
	s_cbranch_scc0 .LBB6_1609
; %bb.1602:
	s_wait_xcnt 0x0
	v_cvt_f32_f64_e32 v8, v[6:7]
	v_mov_b32_e32 v11, 0x80
	s_mov_b32 s3, exec_lo
	s_delay_alu instid0(VALU_DEP_2) | instskip(NEXT) | instid1(VALU_DEP_1)
	v_and_b32_e32 v9, 0x7fffffff, v8
	v_cmpx_gt_u32_e32 0x47800000, v9
	s_cbranch_execz .LBB6_1608
; %bb.1603:
	v_cmp_lt_u32_e32 vcc_lo, 0x37ffffff, v9
	s_mov_b32 s6, 0
                                        ; implicit-def: $vgpr9
	s_and_saveexec_b32 s7, vcc_lo
	s_delay_alu instid0(SALU_CYCLE_1)
	s_xor_b32 s7, exec_lo, s7
	s_cbranch_execz .LBB6_2048
; %bb.1604:
	v_bfe_u32 v9, v8, 21, 1
	s_mov_b32 s6, exec_lo
	s_delay_alu instid0(VALU_DEP_1) | instskip(NEXT) | instid1(VALU_DEP_1)
	v_add3_u32 v9, v8, v9, 0x88fffff
	v_lshrrev_b32_e32 v9, 21, v9
	s_and_not1_saveexec_b32 s7, s7
	s_cbranch_execnz .LBB6_2049
.LBB6_1605:
	s_or_b32 exec_lo, exec_lo, s7
	v_mov_b32_e32 v11, 0
	s_and_saveexec_b32 s7, s6
.LBB6_1606:
	v_lshrrev_b32_e32 v8, 24, v8
	s_delay_alu instid0(VALU_DEP_1)
	v_and_or_b32 v11, 0x80, v8, v9
.LBB6_1607:
	s_or_b32 exec_lo, exec_lo, s7
.LBB6_1608:
	s_delay_alu instid0(SALU_CYCLE_1)
	s_or_b32 exec_lo, exec_lo, s3
	s_mov_b32 s3, 0
	global_store_b8 v[12:13], v11, off
.LBB6_1609:
	s_and_b32 vcc_lo, exec_lo, s3
	s_cbranch_vccz .LBB6_1619
; %bb.1610:
	s_wait_xcnt 0x0
	v_cvt_f32_f64_e32 v8, v[6:7]
	s_mov_b32 s3, exec_lo
                                        ; implicit-def: $vgpr9
	s_delay_alu instid0(VALU_DEP_1) | instskip(NEXT) | instid1(VALU_DEP_1)
	v_and_b32_e32 v11, 0x7fffffff, v8
	v_cmpx_gt_u32_e32 0x43f00000, v11
	s_xor_b32 s3, exec_lo, s3
	s_cbranch_execz .LBB6_1616
; %bb.1611:
	s_mov_b32 s6, exec_lo
                                        ; implicit-def: $vgpr9
	v_cmpx_lt_u32_e32 0x3c7fffff, v11
	s_xor_b32 s6, exec_lo, s6
; %bb.1612:
	v_bfe_u32 v9, v8, 20, 1
	s_delay_alu instid0(VALU_DEP_1) | instskip(NEXT) | instid1(VALU_DEP_1)
	v_add3_u32 v9, v8, v9, 0x407ffff
	v_and_b32_e32 v11, 0xff00000, v9
	v_lshrrev_b32_e32 v9, 20, v9
	s_delay_alu instid0(VALU_DEP_2) | instskip(NEXT) | instid1(VALU_DEP_2)
	v_cmp_ne_u32_e32 vcc_lo, 0x7f00000, v11
	v_cndmask_b32_e32 v9, 0x7e, v9, vcc_lo
; %bb.1613:
	s_and_not1_saveexec_b32 s6, s6
; %bb.1614:
	v_add_f32_e64 v9, 0x46800000, |v8|
; %bb.1615:
	s_or_b32 exec_lo, exec_lo, s6
                                        ; implicit-def: $vgpr11
.LBB6_1616:
	s_and_not1_saveexec_b32 s3, s3
; %bb.1617:
	v_mov_b32_e32 v9, 0x7f
	v_cmp_lt_u32_e32 vcc_lo, 0x7f800000, v11
	s_delay_alu instid0(VALU_DEP_2)
	v_cndmask_b32_e32 v9, 0x7e, v9, vcc_lo
; %bb.1618:
	s_or_b32 exec_lo, exec_lo, s3
	v_lshrrev_b32_e32 v8, 24, v8
	s_delay_alu instid0(VALU_DEP_1)
	v_and_or_b32 v8, 0x80, v8, v9
	global_store_b8 v[12:13], v8, off
.LBB6_1619:
	s_mov_b32 s3, 0
.LBB6_1620:
	s_delay_alu instid0(SALU_CYCLE_1)
	s_and_not1_b32 vcc_lo, exec_lo, s3
	s_cbranch_vccnz .LBB6_1630
; %bb.1621:
	s_wait_xcnt 0x0
	v_cvt_f32_f64_e32 v8, v[6:7]
	s_mov_b32 s3, exec_lo
                                        ; implicit-def: $vgpr9
	s_delay_alu instid0(VALU_DEP_1) | instskip(NEXT) | instid1(VALU_DEP_1)
	v_and_b32_e32 v11, 0x7fffffff, v8
	v_cmpx_gt_u32_e32 0x47800000, v11
	s_xor_b32 s3, exec_lo, s3
	s_cbranch_execz .LBB6_1627
; %bb.1622:
	s_mov_b32 s6, exec_lo
                                        ; implicit-def: $vgpr9
	v_cmpx_lt_u32_e32 0x387fffff, v11
	s_xor_b32 s6, exec_lo, s6
; %bb.1623:
	v_bfe_u32 v9, v8, 21, 1
	s_delay_alu instid0(VALU_DEP_1) | instskip(NEXT) | instid1(VALU_DEP_1)
	v_add3_u32 v9, v8, v9, 0x80fffff
	v_lshrrev_b32_e32 v9, 21, v9
; %bb.1624:
	s_and_not1_saveexec_b32 s6, s6
; %bb.1625:
	v_add_f32_e64 v9, 0x43000000, |v8|
; %bb.1626:
	s_or_b32 exec_lo, exec_lo, s6
                                        ; implicit-def: $vgpr11
.LBB6_1627:
	s_and_not1_saveexec_b32 s3, s3
; %bb.1628:
	v_mov_b32_e32 v9, 0x7f
	v_cmp_lt_u32_e32 vcc_lo, 0x7f800000, v11
	s_delay_alu instid0(VALU_DEP_2)
	v_cndmask_b32_e32 v9, 0x7c, v9, vcc_lo
; %bb.1629:
	s_or_b32 exec_lo, exec_lo, s3
	v_lshrrev_b32_e32 v8, 24, v8
	s_delay_alu instid0(VALU_DEP_1)
	v_and_or_b32 v8, 0x80, v8, v9
	global_store_b8 v[12:13], v8, off
.LBB6_1630:
	s_mov_b32 s3, 0
	s_mov_b32 s6, -1
.LBB6_1631:
	s_and_not1_b32 vcc_lo, exec_lo, s3
	s_mov_b32 s3, 0
	s_cbranch_vccnz .LBB6_1638
; %bb.1632:
	s_cmp_gt_i32 s2, 14
	s_mov_b32 s3, -1
	s_cbranch_scc0 .LBB6_1636
; %bb.1633:
	s_cmp_eq_u32 s2, 15
	s_mov_b32 s0, -1
	s_cbranch_scc0 .LBB6_1635
; %bb.1634:
	s_wait_xcnt 0x0
	v_cvt_f32_f64_e32 v8, v[6:7]
	s_mov_b32 s0, 0
	s_mov_b32 s6, -1
	s_delay_alu instid0(VALU_DEP_1) | instskip(SKIP_1) | instid1(VALU_DEP_2)
	v_bfe_u32 v9, v8, 16, 1
	v_cmp_o_f32_e32 vcc_lo, v8, v8
	v_add3_u32 v9, v8, v9, 0x7fff
	s_delay_alu instid0(VALU_DEP_1) | instskip(NEXT) | instid1(VALU_DEP_1)
	v_lshrrev_b32_e32 v9, 16, v9
	v_cndmask_b32_e32 v8, 0x7fc0, v9, vcc_lo
	global_store_b16 v[12:13], v8, off
.LBB6_1635:
	s_mov_b32 s3, 0
.LBB6_1636:
	s_delay_alu instid0(SALU_CYCLE_1)
	s_and_b32 vcc_lo, exec_lo, s3
	s_mov_b32 s3, 0
	s_cbranch_vccz .LBB6_1638
; %bb.1637:
	s_cmp_lg_u32 s2, 11
	s_mov_b32 s3, -1
	s_cselect_b32 s0, -1, 0
.LBB6_1638:
	s_delay_alu instid0(SALU_CYCLE_1)
	s_and_b32 vcc_lo, exec_lo, s0
	s_cbranch_vccnz .LBB6_2047
; %bb.1639:
	s_and_not1_b32 vcc_lo, exec_lo, s3
	s_cbranch_vccnz .LBB6_1641
.LBB6_1640:
	v_cmp_neq_f64_e32 vcc_lo, 0, v[6:7]
	s_mov_b32 s6, -1
	s_wait_xcnt 0x0
	v_cndmask_b32_e64 v8, 0, 1, vcc_lo
	global_store_b8 v[12:13], v8, off
.LBB6_1641:
	s_mov_b32 s0, 0
	s_branch .LBB6_1688
.LBB6_1642:
	s_mov_b32 s0, 0
	s_mov_b32 s3, 0
                                        ; implicit-def: $sgpr14
                                        ; implicit-def: $vgpr4_vgpr5
                                        ; implicit-def: $vgpr0_vgpr1
.LBB6_1643:
	s_and_not1_b32 s2, s13, exec_lo
	s_and_b32 s4, s1, exec_lo
	s_and_b32 s0, s0, exec_lo
	;; [unrolled: 1-line block ×3, first 2 shown]
	s_or_b32 s13, s2, s4
.LBB6_1644:
	s_wait_xcnt 0x0
	s_or_b32 exec_lo, exec_lo, s12
	s_and_saveexec_b32 s2, s13
	s_cbranch_execz .LBB6_1647
; %bb.1645:
	; divergent unreachable
	s_or_b32 exec_lo, exec_lo, s2
	s_and_saveexec_b32 s2, s1
	s_delay_alu instid0(SALU_CYCLE_1)
	s_xor_b32 s1, exec_lo, s2
	s_cbranch_execnz .LBB6_1648
.LBB6_1646:
	s_or_b32 exec_lo, exec_lo, s1
	s_and_saveexec_b32 s1, s0
	s_cbranch_execnz .LBB6_1649
	s_branch .LBB6_1686
.LBB6_1647:
	s_or_b32 exec_lo, exec_lo, s2
	s_and_saveexec_b32 s2, s1
	s_delay_alu instid0(SALU_CYCLE_1)
	s_xor_b32 s1, exec_lo, s2
	s_cbranch_execz .LBB6_1646
.LBB6_1648:
	s_delay_alu instid0(VALU_DEP_4)
	v_cmp_neq_f64_e32 vcc_lo, 0, v[0:1]
	s_wait_loadcnt 0x0
	v_cndmask_b32_e64 v2, 0, 1, vcc_lo
	global_store_b8 v[4:5], v2, off
	s_wait_xcnt 0x0
	s_or_b32 exec_lo, exec_lo, s1
	s_and_saveexec_b32 s1, s0
	s_cbranch_execz .LBB6_1686
.LBB6_1649:
	s_sext_i32_i16 s1, s14
	s_mov_b32 s0, -1
	s_cmp_lt_i32 s1, 5
	s_cbranch_scc1 .LBB6_1670
; %bb.1650:
	s_cmp_lt_i32 s1, 8
	s_cbranch_scc1 .LBB6_1660
; %bb.1651:
	;; [unrolled: 3-line block ×3, first 2 shown]
	s_cmp_gt_i32 s1, 9
	s_cbranch_scc0 .LBB6_1654
; %bb.1653:
	s_wait_loadcnt 0x0
	v_mov_b32_e32 v2, 0
	s_mov_b32 s0, 0
	s_delay_alu instid0(VALU_DEP_1)
	v_mov_b32_e32 v3, v2
	global_store_b128 v[4:5], v[0:3], off
.LBB6_1654:
	s_and_not1_b32 vcc_lo, exec_lo, s0
	s_cbranch_vccnz .LBB6_1656
; %bb.1655:
	s_wait_loadcnt 0x0
	v_cvt_f32_f64_e32 v2, v[0:1]
	v_mov_b32_e32 v3, 0
	global_store_b64 v[4:5], v[2:3], off
.LBB6_1656:
	s_mov_b32 s0, 0
.LBB6_1657:
	s_delay_alu instid0(SALU_CYCLE_1)
	s_and_not1_b32 vcc_lo, exec_lo, s0
	s_cbranch_vccnz .LBB6_1659
; %bb.1658:
	s_wait_loadcnt 0x0
	v_and_or_b32 v2, 0x1ff, v1, v0
	v_lshrrev_b32_e32 v3, 8, v1
	v_bfe_u32 v6, v1, 20, 11
	s_delay_alu instid0(VALU_DEP_3) | instskip(NEXT) | instid1(VALU_DEP_2)
	v_cmp_ne_u32_e32 vcc_lo, 0, v2
	v_sub_nc_u32_e32 v7, 0x3f1, v6
	v_cndmask_b32_e64 v2, 0, 1, vcc_lo
	s_delay_alu instid0(VALU_DEP_1) | instskip(NEXT) | instid1(VALU_DEP_3)
	v_and_or_b32 v2, 0xffe, v3, v2
	v_med3_i32 v3, v7, 0, 13
	s_delay_alu instid0(VALU_DEP_2) | instskip(NEXT) | instid1(VALU_DEP_1)
	v_or_b32_e32 v7, 0x1000, v2
	v_lshrrev_b32_e32 v8, v3, v7
	s_delay_alu instid0(VALU_DEP_1) | instskip(NEXT) | instid1(VALU_DEP_1)
	v_lshlrev_b32_e32 v3, v3, v8
	v_cmp_ne_u32_e32 vcc_lo, v3, v7
	v_cndmask_b32_e64 v3, 0, 1, vcc_lo
	s_delay_alu instid0(VALU_DEP_1) | instskip(SKIP_1) | instid1(VALU_DEP_1)
	v_or_b32_e32 v3, v8, v3
	v_add_nc_u32_e32 v6, 0xfffffc10, v6
	v_lshl_or_b32 v7, v6, 12, v2
	v_cmp_gt_i32_e32 vcc_lo, 1, v6
	s_delay_alu instid0(VALU_DEP_2) | instskip(NEXT) | instid1(VALU_DEP_1)
	v_cndmask_b32_e32 v3, v7, v3, vcc_lo
	v_dual_lshrrev_b32 v3, 2, v3 :: v_dual_bitop2_b32 v7, 7, v3 bitop3:0x40
	s_delay_alu instid0(VALU_DEP_1) | instskip(SKIP_4) | instid1(VALU_DEP_2)
	v_cmp_lt_i32_e32 vcc_lo, 5, v7
	v_cndmask_b32_e64 v8, 0, 1, vcc_lo
	v_cmp_eq_u32_e32 vcc_lo, 3, v7
	v_cndmask_b32_e64 v7, 0, 1, vcc_lo
	v_cmp_ne_u32_e32 vcc_lo, 0, v2
	v_or_b32_e32 v7, v7, v8
	s_delay_alu instid0(VALU_DEP_1) | instskip(NEXT) | instid1(VALU_DEP_1)
	v_dual_mov_b32 v8, 0x7e00 :: v_dual_add_nc_u32 v3, v3, v7
	v_cndmask_b32_e32 v2, 0x7c00, v8, vcc_lo
	v_cmp_gt_i32_e32 vcc_lo, 31, v6
	v_lshrrev_b32_e32 v7, 16, v1
	s_delay_alu instid0(VALU_DEP_4) | instskip(SKIP_1) | instid1(VALU_DEP_2)
	v_cndmask_b32_e32 v3, 0x7c00, v3, vcc_lo
	v_cmp_eq_u32_e32 vcc_lo, 0x40f, v6
	v_cndmask_b32_e32 v2, v3, v2, vcc_lo
	s_delay_alu instid0(VALU_DEP_4) | instskip(NEXT) | instid1(VALU_DEP_1)
	v_and_b32_e32 v3, 0x8000, v7
	v_bitop3_b32 v2, v3, 0xffff, v2 bitop3:0xc8
	global_store_b32 v[4:5], v2, off
.LBB6_1659:
	s_mov_b32 s0, 0
.LBB6_1660:
	s_delay_alu instid0(SALU_CYCLE_1)
	s_and_not1_b32 vcc_lo, exec_lo, s0
	s_cbranch_vccnz .LBB6_1669
; %bb.1661:
	s_sext_i32_i16 s1, s14
	s_mov_b32 s0, -1
	s_cmp_lt_i32 s1, 6
	s_cbranch_scc1 .LBB6_1667
; %bb.1662:
	s_cmp_gt_i32 s1, 6
	s_cbranch_scc0 .LBB6_1664
; %bb.1663:
	s_mov_b32 s0, 0
	s_wait_loadcnt 0x0
	global_store_b64 v[4:5], v[0:1], off
.LBB6_1664:
	s_and_not1_b32 vcc_lo, exec_lo, s0
	s_cbranch_vccnz .LBB6_1666
; %bb.1665:
	s_wait_loadcnt 0x0
	v_cvt_f32_f64_e32 v2, v[0:1]
	global_store_b32 v[4:5], v2, off
.LBB6_1666:
	s_mov_b32 s0, 0
.LBB6_1667:
	s_delay_alu instid0(SALU_CYCLE_1)
	s_and_not1_b32 vcc_lo, exec_lo, s0
	s_cbranch_vccnz .LBB6_1669
; %bb.1668:
	s_wait_loadcnt 0x0
	v_and_or_b32 v2, 0x1ff, v1, v0
	v_lshrrev_b32_e32 v3, 8, v1
	v_bfe_u32 v6, v1, 20, 11
	s_delay_alu instid0(VALU_DEP_3) | instskip(NEXT) | instid1(VALU_DEP_2)
	v_cmp_ne_u32_e32 vcc_lo, 0, v2
	v_sub_nc_u32_e32 v7, 0x3f1, v6
	v_cndmask_b32_e64 v2, 0, 1, vcc_lo
	s_delay_alu instid0(VALU_DEP_1) | instskip(NEXT) | instid1(VALU_DEP_3)
	v_and_or_b32 v2, 0xffe, v3, v2
	v_med3_i32 v3, v7, 0, 13
	s_delay_alu instid0(VALU_DEP_2) | instskip(NEXT) | instid1(VALU_DEP_1)
	v_or_b32_e32 v7, 0x1000, v2
	v_lshrrev_b32_e32 v8, v3, v7
	s_delay_alu instid0(VALU_DEP_1) | instskip(NEXT) | instid1(VALU_DEP_1)
	v_lshlrev_b32_e32 v3, v3, v8
	v_cmp_ne_u32_e32 vcc_lo, v3, v7
	v_cndmask_b32_e64 v3, 0, 1, vcc_lo
	s_delay_alu instid0(VALU_DEP_1) | instskip(SKIP_1) | instid1(VALU_DEP_1)
	v_or_b32_e32 v3, v8, v3
	v_add_nc_u32_e32 v6, 0xfffffc10, v6
	v_lshl_or_b32 v7, v6, 12, v2
	v_cmp_gt_i32_e32 vcc_lo, 1, v6
	s_delay_alu instid0(VALU_DEP_2) | instskip(NEXT) | instid1(VALU_DEP_1)
	v_cndmask_b32_e32 v3, v7, v3, vcc_lo
	v_dual_lshrrev_b32 v3, 2, v3 :: v_dual_bitop2_b32 v7, 7, v3 bitop3:0x40
	s_delay_alu instid0(VALU_DEP_1) | instskip(SKIP_4) | instid1(VALU_DEP_2)
	v_cmp_lt_i32_e32 vcc_lo, 5, v7
	v_cndmask_b32_e64 v8, 0, 1, vcc_lo
	v_cmp_eq_u32_e32 vcc_lo, 3, v7
	v_cndmask_b32_e64 v7, 0, 1, vcc_lo
	v_cmp_ne_u32_e32 vcc_lo, 0, v2
	v_or_b32_e32 v7, v7, v8
	s_delay_alu instid0(VALU_DEP_1) | instskip(NEXT) | instid1(VALU_DEP_1)
	v_dual_mov_b32 v8, 0x7e00 :: v_dual_add_nc_u32 v3, v3, v7
	v_cndmask_b32_e32 v2, 0x7c00, v8, vcc_lo
	v_cmp_gt_i32_e32 vcc_lo, 31, v6
	s_delay_alu instid0(VALU_DEP_3) | instskip(SKIP_1) | instid1(VALU_DEP_2)
	v_cndmask_b32_e32 v3, 0x7c00, v3, vcc_lo
	v_cmp_eq_u32_e32 vcc_lo, 0x40f, v6
	v_dual_cndmask_b32 v2, v3, v2 :: v_dual_lshrrev_b32 v3, 16, v1
	s_delay_alu instid0(VALU_DEP_1)
	v_and_or_b32 v2, 0x8000, v3, v2
	global_store_b16 v[4:5], v2, off
.LBB6_1669:
	s_mov_b32 s0, 0
.LBB6_1670:
	s_delay_alu instid0(SALU_CYCLE_1)
	s_and_not1_b32 vcc_lo, exec_lo, s0
	s_cbranch_vccnz .LBB6_1686
; %bb.1671:
	s_sext_i32_i16 s1, s14
	s_mov_b32 s0, -1
	s_cmp_lt_i32 s1, 2
	s_cbranch_scc1 .LBB6_1681
; %bb.1672:
	s_cmp_lt_i32 s1, 3
	s_cbranch_scc1 .LBB6_1678
; %bb.1673:
	s_cmp_gt_i32 s1, 3
	s_cbranch_scc0 .LBB6_1675
; %bb.1674:
	s_wait_loadcnt 0x0
	v_trunc_f64_e32 v[2:3], v[0:1]
	s_mov_b32 s0, 0
	s_delay_alu instid0(VALU_DEP_1) | instskip(NEXT) | instid1(VALU_DEP_1)
	v_ldexp_f64 v[6:7], v[2:3], 0xffffffe0
	v_floor_f64_e32 v[6:7], v[6:7]
	s_delay_alu instid0(VALU_DEP_1) | instskip(SKIP_1) | instid1(VALU_DEP_2)
	v_fmamk_f64 v[2:3], v[6:7], 0xc1f00000, v[2:3]
	v_cvt_i32_f64_e32 v7, v[6:7]
	v_cvt_u32_f64_e32 v6, v[2:3]
	global_store_b64 v[4:5], v[6:7], off
.LBB6_1675:
	s_and_not1_b32 vcc_lo, exec_lo, s0
	s_cbranch_vccnz .LBB6_1677
; %bb.1676:
	s_wait_loadcnt 0x0
	v_cvt_i32_f64_e32 v2, v[0:1]
	global_store_b32 v[4:5], v2, off
.LBB6_1677:
	s_mov_b32 s0, 0
.LBB6_1678:
	s_delay_alu instid0(SALU_CYCLE_1)
	s_and_not1_b32 vcc_lo, exec_lo, s0
	s_cbranch_vccnz .LBB6_1680
; %bb.1679:
	s_wait_loadcnt 0x0
	v_cvt_i32_f64_e32 v2, v[0:1]
	global_store_b16 v[4:5], v2, off
.LBB6_1680:
	s_mov_b32 s0, 0
.LBB6_1681:
	s_delay_alu instid0(SALU_CYCLE_1)
	s_and_not1_b32 vcc_lo, exec_lo, s0
	s_cbranch_vccnz .LBB6_1686
; %bb.1682:
	s_sext_i32_i16 s0, s14
	s_delay_alu instid0(SALU_CYCLE_1)
	s_cmp_gt_i32 s0, 0
	s_mov_b32 s0, -1
	s_cbranch_scc0 .LBB6_1684
; %bb.1683:
	s_wait_loadcnt 0x0
	v_cvt_i32_f64_e32 v2, v[0:1]
	s_mov_b32 s0, 0
	global_store_b8 v[4:5], v2, off
.LBB6_1684:
	s_and_not1_b32 vcc_lo, exec_lo, s0
	s_cbranch_vccnz .LBB6_1686
; %bb.1685:
	s_wait_xcnt 0x0
	v_trunc_f64_e32 v[0:1], v[0:1]
	s_wait_loadcnt 0x0
	s_delay_alu instid0(VALU_DEP_1) | instskip(NEXT) | instid1(VALU_DEP_1)
	v_ldexp_f64 v[2:3], v[0:1], 0xffffffe0
	v_floor_f64_e32 v[2:3], v[2:3]
	s_delay_alu instid0(VALU_DEP_1) | instskip(NEXT) | instid1(VALU_DEP_1)
	v_fmamk_f64 v[0:1], v[2:3], 0xc1f00000, v[0:1]
	v_cvt_u32_f64_e32 v0, v[0:1]
	global_store_b8 v[4:5], v0, off
	s_endpgm
.LBB6_1686:
	s_endpgm
.LBB6_1687:
	s_mov_b32 s0, -1
	s_mov_b32 s6, 0
.LBB6_1688:
	s_and_b32 vcc_lo, exec_lo, s0
	s_cbranch_vccz .LBB6_1727
; %bb.1689:
	s_and_b32 s0, 0xffff, s14
	s_mov_b32 s2, -1
	s_cmp_lt_i32 s0, 5
	s_cbranch_scc1 .LBB6_1710
; %bb.1690:
	s_cmp_lt_i32 s0, 8
	s_cbranch_scc1 .LBB6_1700
; %bb.1691:
	;; [unrolled: 3-line block ×3, first 2 shown]
	s_cmp_gt_i32 s0, 9
	s_cbranch_scc0 .LBB6_1694
; %bb.1693:
	s_wait_xcnt 0x0
	v_mov_b32_e32 v8, 0
	s_mov_b32 s2, 0
	s_delay_alu instid0(VALU_DEP_1)
	v_mov_b32_e32 v9, v8
	global_store_b128 v[12:13], v[6:9], off
.LBB6_1694:
	s_and_not1_b32 vcc_lo, exec_lo, s2
	s_cbranch_vccnz .LBB6_1696
; %bb.1695:
	s_wait_xcnt 0x0
	v_cvt_f32_f64_e32 v8, v[6:7]
	v_mov_b32_e32 v9, 0
	global_store_b64 v[12:13], v[8:9], off
.LBB6_1696:
	s_mov_b32 s2, 0
.LBB6_1697:
	s_delay_alu instid0(SALU_CYCLE_1)
	s_and_not1_b32 vcc_lo, exec_lo, s2
	s_cbranch_vccnz .LBB6_1699
; %bb.1698:
	s_wait_xcnt 0x0
	v_and_or_b32 v8, 0x1ff, v7, v6
	v_lshrrev_b32_e32 v9, 8, v7
	v_bfe_u32 v11, v7, 20, 11
	s_delay_alu instid0(VALU_DEP_3) | instskip(NEXT) | instid1(VALU_DEP_2)
	v_cmp_ne_u32_e32 vcc_lo, 0, v8
	v_sub_nc_u32_e32 v14, 0x3f1, v11
	v_add_nc_u32_e32 v11, 0xfffffc10, v11
	v_cndmask_b32_e64 v8, 0, 1, vcc_lo
	s_delay_alu instid0(VALU_DEP_1) | instskip(NEXT) | instid1(VALU_DEP_4)
	v_and_or_b32 v8, 0xffe, v9, v8
	v_med3_i32 v9, v14, 0, 13
	s_delay_alu instid0(VALU_DEP_2) | instskip(NEXT) | instid1(VALU_DEP_1)
	v_or_b32_e32 v14, 0x1000, v8
	v_lshrrev_b32_e32 v15, v9, v14
	s_delay_alu instid0(VALU_DEP_1) | instskip(NEXT) | instid1(VALU_DEP_1)
	v_lshlrev_b32_e32 v9, v9, v15
	v_cmp_ne_u32_e32 vcc_lo, v9, v14
	v_lshl_or_b32 v14, v11, 12, v8
	v_cndmask_b32_e64 v9, 0, 1, vcc_lo
	v_cmp_gt_i32_e32 vcc_lo, 1, v11
	s_delay_alu instid0(VALU_DEP_2) | instskip(NEXT) | instid1(VALU_DEP_1)
	v_or_b32_e32 v9, v15, v9
	v_cndmask_b32_e32 v9, v14, v9, vcc_lo
	s_delay_alu instid0(VALU_DEP_1) | instskip(NEXT) | instid1(VALU_DEP_1)
	v_dual_lshrrev_b32 v9, 2, v9 :: v_dual_bitop2_b32 v14, 7, v9 bitop3:0x40
	v_cmp_lt_i32_e32 vcc_lo, 5, v14
	v_cndmask_b32_e64 v15, 0, 1, vcc_lo
	v_cmp_eq_u32_e32 vcc_lo, 3, v14
	v_cndmask_b32_e64 v14, 0, 1, vcc_lo
	v_cmp_ne_u32_e32 vcc_lo, 0, v8
	s_delay_alu instid0(VALU_DEP_2) | instskip(SKIP_1) | instid1(VALU_DEP_1)
	v_or_b32_e32 v14, v14, v15
	v_mov_b32_e32 v15, 0x7e00
	v_dual_cndmask_b32 v8, 0x7c00, v15 :: v_dual_add_nc_u32 v9, v9, v14
	v_cmp_gt_i32_e32 vcc_lo, 31, v11
	s_delay_alu instid0(VALU_DEP_2) | instskip(SKIP_1) | instid1(VALU_DEP_2)
	v_dual_cndmask_b32 v9, 0x7c00, v9 :: v_dual_lshrrev_b32 v14, 16, v7
	v_cmp_eq_u32_e32 vcc_lo, 0x40f, v11
	v_cndmask_b32_e32 v8, v9, v8, vcc_lo
	s_delay_alu instid0(VALU_DEP_3) | instskip(NEXT) | instid1(VALU_DEP_1)
	v_and_b32_e32 v9, 0x8000, v14
	v_bitop3_b32 v8, v9, 0xffff, v8 bitop3:0xc8
	global_store_b32 v[12:13], v8, off
.LBB6_1699:
	s_mov_b32 s2, 0
.LBB6_1700:
	s_delay_alu instid0(SALU_CYCLE_1)
	s_and_not1_b32 vcc_lo, exec_lo, s2
	s_cbranch_vccnz .LBB6_1709
; %bb.1701:
	s_cmp_lt_i32 s0, 6
	s_mov_b32 s2, -1
	s_cbranch_scc1 .LBB6_1707
; %bb.1702:
	s_cmp_gt_i32 s0, 6
	s_cbranch_scc0 .LBB6_1704
; %bb.1703:
	s_mov_b32 s2, 0
	global_store_b64 v[12:13], v[6:7], off
.LBB6_1704:
	s_and_not1_b32 vcc_lo, exec_lo, s2
	s_cbranch_vccnz .LBB6_1706
; %bb.1705:
	s_wait_xcnt 0x0
	v_cvt_f32_f64_e32 v8, v[6:7]
	global_store_b32 v[12:13], v8, off
.LBB6_1706:
	s_mov_b32 s2, 0
.LBB6_1707:
	s_delay_alu instid0(SALU_CYCLE_1)
	s_and_not1_b32 vcc_lo, exec_lo, s2
	s_cbranch_vccnz .LBB6_1709
; %bb.1708:
	s_wait_xcnt 0x0
	v_and_or_b32 v8, 0x1ff, v7, v6
	v_lshrrev_b32_e32 v9, 8, v7
	v_bfe_u32 v11, v7, 20, 11
	s_delay_alu instid0(VALU_DEP_3) | instskip(NEXT) | instid1(VALU_DEP_2)
	v_cmp_ne_u32_e32 vcc_lo, 0, v8
	v_sub_nc_u32_e32 v14, 0x3f1, v11
	v_add_nc_u32_e32 v11, 0xfffffc10, v11
	v_cndmask_b32_e64 v8, 0, 1, vcc_lo
	s_delay_alu instid0(VALU_DEP_1) | instskip(NEXT) | instid1(VALU_DEP_4)
	v_and_or_b32 v8, 0xffe, v9, v8
	v_med3_i32 v9, v14, 0, 13
	s_delay_alu instid0(VALU_DEP_2) | instskip(NEXT) | instid1(VALU_DEP_1)
	v_or_b32_e32 v14, 0x1000, v8
	v_lshrrev_b32_e32 v15, v9, v14
	s_delay_alu instid0(VALU_DEP_1) | instskip(NEXT) | instid1(VALU_DEP_1)
	v_lshlrev_b32_e32 v9, v9, v15
	v_cmp_ne_u32_e32 vcc_lo, v9, v14
	v_lshl_or_b32 v14, v11, 12, v8
	v_cndmask_b32_e64 v9, 0, 1, vcc_lo
	v_cmp_gt_i32_e32 vcc_lo, 1, v11
	s_delay_alu instid0(VALU_DEP_2) | instskip(NEXT) | instid1(VALU_DEP_1)
	v_or_b32_e32 v9, v15, v9
	v_cndmask_b32_e32 v9, v14, v9, vcc_lo
	s_delay_alu instid0(VALU_DEP_1) | instskip(NEXT) | instid1(VALU_DEP_1)
	v_dual_lshrrev_b32 v9, 2, v9 :: v_dual_bitop2_b32 v14, 7, v9 bitop3:0x40
	v_cmp_lt_i32_e32 vcc_lo, 5, v14
	v_cndmask_b32_e64 v15, 0, 1, vcc_lo
	v_cmp_eq_u32_e32 vcc_lo, 3, v14
	v_cndmask_b32_e64 v14, 0, 1, vcc_lo
	v_cmp_ne_u32_e32 vcc_lo, 0, v8
	s_delay_alu instid0(VALU_DEP_2) | instskip(SKIP_1) | instid1(VALU_DEP_1)
	v_or_b32_e32 v14, v14, v15
	v_mov_b32_e32 v15, 0x7e00
	v_dual_cndmask_b32 v8, 0x7c00, v15 :: v_dual_add_nc_u32 v9, v9, v14
	v_cmp_gt_i32_e32 vcc_lo, 31, v11
	s_delay_alu instid0(VALU_DEP_2) | instskip(SKIP_1) | instid1(VALU_DEP_2)
	v_cndmask_b32_e32 v9, 0x7c00, v9, vcc_lo
	v_cmp_eq_u32_e32 vcc_lo, 0x40f, v11
	v_dual_cndmask_b32 v8, v9, v8 :: v_dual_lshrrev_b32 v9, 16, v7
	s_delay_alu instid0(VALU_DEP_1)
	v_and_or_b32 v8, 0x8000, v9, v8
	global_store_b16 v[12:13], v8, off
.LBB6_1709:
	s_mov_b32 s2, 0
.LBB6_1710:
	s_delay_alu instid0(SALU_CYCLE_1)
	s_and_not1_b32 vcc_lo, exec_lo, s2
	s_cbranch_vccnz .LBB6_1726
; %bb.1711:
	s_cmp_lt_i32 s0, 2
	s_mov_b32 s2, -1
	s_cbranch_scc1 .LBB6_1721
; %bb.1712:
	s_cmp_lt_i32 s0, 3
	s_cbranch_scc1 .LBB6_1718
; %bb.1713:
	s_cmp_gt_i32 s0, 3
	s_cbranch_scc0 .LBB6_1715
; %bb.1714:
	s_wait_xcnt 0x0
	v_trunc_f64_e32 v[8:9], v[6:7]
	s_mov_b32 s2, 0
	s_delay_alu instid0(VALU_DEP_1) | instskip(NEXT) | instid1(VALU_DEP_1)
	v_ldexp_f64 v[14:15], v[8:9], 0xffffffe0
	v_floor_f64_e32 v[14:15], v[14:15]
	s_delay_alu instid0(VALU_DEP_1) | instskip(SKIP_1) | instid1(VALU_DEP_2)
	v_fmamk_f64 v[8:9], v[14:15], 0xc1f00000, v[8:9]
	v_cvt_i32_f64_e32 v15, v[14:15]
	v_cvt_u32_f64_e32 v14, v[8:9]
	global_store_b64 v[12:13], v[14:15], off
.LBB6_1715:
	s_and_not1_b32 vcc_lo, exec_lo, s2
	s_cbranch_vccnz .LBB6_1717
; %bb.1716:
	s_wait_xcnt 0x0
	v_cvt_i32_f64_e32 v8, v[6:7]
	global_store_b32 v[12:13], v8, off
.LBB6_1717:
	s_mov_b32 s2, 0
.LBB6_1718:
	s_delay_alu instid0(SALU_CYCLE_1)
	s_and_not1_b32 vcc_lo, exec_lo, s2
	s_cbranch_vccnz .LBB6_1720
; %bb.1719:
	s_wait_xcnt 0x0
	v_cvt_i32_f64_e32 v8, v[6:7]
	global_store_b16 v[12:13], v8, off
.LBB6_1720:
	s_mov_b32 s2, 0
.LBB6_1721:
	s_delay_alu instid0(SALU_CYCLE_1)
	s_and_not1_b32 vcc_lo, exec_lo, s2
	s_cbranch_vccnz .LBB6_1726
; %bb.1722:
	s_cmp_gt_i32 s0, 0
	s_mov_b32 s0, -1
	s_cbranch_scc0 .LBB6_1724
; %bb.1723:
	s_wait_xcnt 0x0
	v_cvt_i32_f64_e32 v8, v[6:7]
	s_mov_b32 s0, 0
	global_store_b8 v[12:13], v8, off
.LBB6_1724:
	s_and_not1_b32 vcc_lo, exec_lo, s0
	s_cbranch_vccnz .LBB6_1726
; %bb.1725:
	s_wait_xcnt 0x0
	v_trunc_f64_e32 v[6:7], v[6:7]
	s_delay_alu instid0(VALU_DEP_1) | instskip(NEXT) | instid1(VALU_DEP_1)
	v_ldexp_f64 v[8:9], v[6:7], 0xffffffe0
	v_floor_f64_e32 v[8:9], v[8:9]
	s_delay_alu instid0(VALU_DEP_1) | instskip(NEXT) | instid1(VALU_DEP_1)
	v_fmamk_f64 v[6:7], v[8:9], 0xc1f00000, v[6:7]
	v_cvt_u32_f64_e32 v6, v[6:7]
	global_store_b8 v[12:13], v6, off
.LBB6_1726:
	s_mov_b32 s6, -1
.LBB6_1727:
	s_delay_alu instid0(SALU_CYCLE_1)
	s_and_not1_b32 vcc_lo, exec_lo, s6
	s_cbranch_vccnz .LBB6_2042
; %bb.1728:
	s_lshl_b32 s2, s8, 7
	s_cmp_lt_i32 s14, 11
	s_wait_xcnt 0x0
	v_add_nc_u32_e32 v8, s2, v10
	s_delay_alu instid0(VALU_DEP_1) | instskip(NEXT) | instid1(VALU_DEP_1)
	v_ashrrev_i32_e32 v9, 31, v8
	v_add_nc_u64_e32 v[10:11], s[4:5], v[8:9]
	s_cbranch_scc1 .LBB6_1806
; %bb.1729:
	s_and_b32 s3, 0xffff, s14
	s_mov_b32 s8, -1
	s_mov_b32 s6, 0
	s_cmp_gt_i32 s3, 25
	s_mov_b32 s7, 0
	s_mov_b32 s0, 0
	s_cbranch_scc0 .LBB6_1762
; %bb.1730:
	s_cmp_gt_i32 s3, 28
	s_cbranch_scc0 .LBB6_1745
; %bb.1731:
	s_cmp_gt_i32 s3, 43
	;; [unrolled: 3-line block ×3, first 2 shown]
	s_cbranch_scc0 .LBB6_1735
; %bb.1733:
	s_mov_b32 s0, -1
	s_mov_b32 s8, 0
	s_cmp_eq_u32 s3, 46
	s_cbranch_scc0 .LBB6_1735
; %bb.1734:
	v_cvt_f32_f64_e32 v6, v[4:5]
	s_mov_b32 s0, 0
	s_mov_b32 s7, -1
	s_delay_alu instid0(VALU_DEP_1) | instskip(SKIP_1) | instid1(VALU_DEP_2)
	v_bfe_u32 v7, v6, 16, 1
	v_cmp_o_f32_e32 vcc_lo, v6, v6
	v_add3_u32 v7, v6, v7, 0x7fff
	s_delay_alu instid0(VALU_DEP_1) | instskip(NEXT) | instid1(VALU_DEP_1)
	v_lshrrev_b32_e32 v7, 16, v7
	v_cndmask_b32_e32 v6, 0x7fc0, v7, vcc_lo
	global_store_b32 v[10:11], v6, off
.LBB6_1735:
	s_and_b32 vcc_lo, exec_lo, s8
	s_cbranch_vccz .LBB6_1740
; %bb.1736:
	s_cmp_eq_u32 s3, 44
	s_mov_b32 s0, -1
	s_cbranch_scc0 .LBB6_1740
; %bb.1737:
	s_wait_xcnt 0x0
	v_cvt_f32_f64_e32 v6, v[4:5]
	v_mov_b32_e32 v7, 0xff
	s_mov_b32 s7, exec_lo
	s_delay_alu instid0(VALU_DEP_2) | instskip(NEXT) | instid1(VALU_DEP_1)
	v_bfe_u32 v9, v6, 23, 8
	v_cmpx_ne_u32_e32 0xff, v9
	s_cbranch_execz .LBB6_1739
; %bb.1738:
	v_and_b32_e32 v7, 0x400000, v6
	v_and_or_b32 v9, 0x3fffff, v6, v9
	v_lshrrev_b32_e32 v6, 23, v6
	s_delay_alu instid0(VALU_DEP_3) | instskip(NEXT) | instid1(VALU_DEP_3)
	v_cmp_ne_u32_e32 vcc_lo, 0, v7
	v_cmp_ne_u32_e64 s0, 0, v9
	s_and_b32 s0, vcc_lo, s0
	s_delay_alu instid0(SALU_CYCLE_1) | instskip(NEXT) | instid1(VALU_DEP_1)
	v_cndmask_b32_e64 v7, 0, 1, s0
	v_add_nc_u32_e32 v7, v6, v7
.LBB6_1739:
	s_or_b32 exec_lo, exec_lo, s7
	s_mov_b32 s0, 0
	s_mov_b32 s7, -1
	global_store_b8 v[10:11], v7, off
.LBB6_1740:
	s_mov_b32 s8, 0
.LBB6_1741:
	s_delay_alu instid0(SALU_CYCLE_1)
	s_and_b32 vcc_lo, exec_lo, s8
	s_cbranch_vccz .LBB6_1744
; %bb.1742:
	s_cmp_eq_u32 s3, 29
	s_mov_b32 s0, -1
	s_cbranch_scc0 .LBB6_1744
; %bb.1743:
	s_wait_xcnt 0x0
	v_trunc_f64_e32 v[6:7], v[4:5]
	s_mov_b32 s0, 0
	s_mov_b32 s7, -1
	s_delay_alu instid0(VALU_DEP_1) | instskip(NEXT) | instid1(VALU_DEP_1)
	v_ldexp_f64 v[12:13], v[6:7], 0xffffffe0
	v_floor_f64_e32 v[12:13], v[12:13]
	s_delay_alu instid0(VALU_DEP_1) | instskip(SKIP_1) | instid1(VALU_DEP_2)
	v_fmamk_f64 v[6:7], v[12:13], 0xc1f00000, v[6:7]
	v_cvt_u32_f64_e32 v13, v[12:13]
	v_cvt_u32_f64_e32 v12, v[6:7]
	global_store_b64 v[10:11], v[12:13], off
.LBB6_1744:
	s_mov_b32 s8, 0
.LBB6_1745:
	s_delay_alu instid0(SALU_CYCLE_1)
	s_and_b32 vcc_lo, exec_lo, s8
	s_cbranch_vccz .LBB6_1761
; %bb.1746:
	s_cmp_lt_i32 s3, 27
	s_mov_b32 s7, -1
	s_cbranch_scc1 .LBB6_1752
; %bb.1747:
	s_wait_xcnt 0x0
	v_cvt_u32_f64_e32 v6, v[4:5]
	s_cmp_gt_i32 s3, 27
	s_cbranch_scc0 .LBB6_1749
; %bb.1748:
	s_mov_b32 s7, 0
	global_store_b32 v[10:11], v6, off
.LBB6_1749:
	s_and_not1_b32 vcc_lo, exec_lo, s7
	s_cbranch_vccnz .LBB6_1751
; %bb.1750:
	global_store_b16 v[10:11], v6, off
.LBB6_1751:
	s_mov_b32 s7, 0
.LBB6_1752:
	s_delay_alu instid0(SALU_CYCLE_1)
	s_and_not1_b32 vcc_lo, exec_lo, s7
	s_cbranch_vccnz .LBB6_1760
; %bb.1753:
	s_wait_xcnt 0x0
	v_cvt_f32_f64_e32 v6, v[4:5]
	v_mov_b32_e32 v9, 0x80
	s_mov_b32 s7, exec_lo
	s_delay_alu instid0(VALU_DEP_2) | instskip(NEXT) | instid1(VALU_DEP_1)
	v_and_b32_e32 v7, 0x7fffffff, v6
	v_cmpx_gt_u32_e32 0x43800000, v7
	s_cbranch_execz .LBB6_1759
; %bb.1754:
	v_cmp_lt_u32_e32 vcc_lo, 0x3bffffff, v7
	s_mov_b32 s8, 0
                                        ; implicit-def: $vgpr7
	s_and_saveexec_b32 s9, vcc_lo
	s_delay_alu instid0(SALU_CYCLE_1)
	s_xor_b32 s9, exec_lo, s9
	s_cbranch_execz .LBB6_2050
; %bb.1755:
	v_bfe_u32 v7, v6, 20, 1
	s_mov_b32 s8, exec_lo
	s_delay_alu instid0(VALU_DEP_1) | instskip(NEXT) | instid1(VALU_DEP_1)
	v_add3_u32 v7, v6, v7, 0x487ffff
	v_lshrrev_b32_e32 v7, 20, v7
	s_and_not1_saveexec_b32 s9, s9
	s_cbranch_execnz .LBB6_2051
.LBB6_1756:
	s_or_b32 exec_lo, exec_lo, s9
	v_mov_b32_e32 v9, 0
	s_and_saveexec_b32 s9, s8
.LBB6_1757:
	v_lshrrev_b32_e32 v6, 24, v6
	s_delay_alu instid0(VALU_DEP_1)
	v_and_or_b32 v9, 0x80, v6, v7
.LBB6_1758:
	s_or_b32 exec_lo, exec_lo, s9
.LBB6_1759:
	s_delay_alu instid0(SALU_CYCLE_1)
	s_or_b32 exec_lo, exec_lo, s7
	global_store_b8 v[10:11], v9, off
.LBB6_1760:
	s_mov_b32 s7, -1
.LBB6_1761:
	s_mov_b32 s8, 0
.LBB6_1762:
	s_delay_alu instid0(SALU_CYCLE_1)
	s_and_b32 vcc_lo, exec_lo, s8
	s_cbranch_vccz .LBB6_1802
; %bb.1763:
	s_cmp_gt_i32 s3, 22
	s_mov_b32 s6, -1
	s_cbranch_scc0 .LBB6_1795
; %bb.1764:
	s_cmp_lt_i32 s3, 24
	s_cbranch_scc1 .LBB6_1784
; %bb.1765:
	s_cmp_gt_i32 s3, 24
	s_cbranch_scc0 .LBB6_1773
; %bb.1766:
	s_wait_xcnt 0x0
	v_cvt_f32_f64_e32 v6, v[4:5]
	v_mov_b32_e32 v9, 0x80
	s_mov_b32 s6, exec_lo
	s_delay_alu instid0(VALU_DEP_2) | instskip(NEXT) | instid1(VALU_DEP_1)
	v_and_b32_e32 v7, 0x7fffffff, v6
	v_cmpx_gt_u32_e32 0x47800000, v7
	s_cbranch_execz .LBB6_1772
; %bb.1767:
	v_cmp_lt_u32_e32 vcc_lo, 0x37ffffff, v7
	s_mov_b32 s7, 0
                                        ; implicit-def: $vgpr7
	s_and_saveexec_b32 s8, vcc_lo
	s_delay_alu instid0(SALU_CYCLE_1)
	s_xor_b32 s8, exec_lo, s8
	s_cbranch_execz .LBB6_2053
; %bb.1768:
	v_bfe_u32 v7, v6, 21, 1
	s_mov_b32 s7, exec_lo
	s_delay_alu instid0(VALU_DEP_1) | instskip(NEXT) | instid1(VALU_DEP_1)
	v_add3_u32 v7, v6, v7, 0x88fffff
	v_lshrrev_b32_e32 v7, 21, v7
	s_and_not1_saveexec_b32 s8, s8
	s_cbranch_execnz .LBB6_2054
.LBB6_1769:
	s_or_b32 exec_lo, exec_lo, s8
	v_mov_b32_e32 v9, 0
	s_and_saveexec_b32 s8, s7
.LBB6_1770:
	v_lshrrev_b32_e32 v6, 24, v6
	s_delay_alu instid0(VALU_DEP_1)
	v_and_or_b32 v9, 0x80, v6, v7
.LBB6_1771:
	s_or_b32 exec_lo, exec_lo, s8
.LBB6_1772:
	s_delay_alu instid0(SALU_CYCLE_1)
	s_or_b32 exec_lo, exec_lo, s6
	s_mov_b32 s6, 0
	global_store_b8 v[10:11], v9, off
.LBB6_1773:
	s_and_b32 vcc_lo, exec_lo, s6
	s_cbranch_vccz .LBB6_1783
; %bb.1774:
	s_wait_xcnt 0x0
	v_cvt_f32_f64_e32 v6, v[4:5]
	s_mov_b32 s6, exec_lo
                                        ; implicit-def: $vgpr7
	s_delay_alu instid0(VALU_DEP_1) | instskip(NEXT) | instid1(VALU_DEP_1)
	v_and_b32_e32 v9, 0x7fffffff, v6
	v_cmpx_gt_u32_e32 0x43f00000, v9
	s_xor_b32 s6, exec_lo, s6
	s_cbranch_execz .LBB6_1780
; %bb.1775:
	s_mov_b32 s7, exec_lo
                                        ; implicit-def: $vgpr7
	v_cmpx_lt_u32_e32 0x3c7fffff, v9
	s_xor_b32 s7, exec_lo, s7
; %bb.1776:
	v_bfe_u32 v7, v6, 20, 1
	s_delay_alu instid0(VALU_DEP_1) | instskip(NEXT) | instid1(VALU_DEP_1)
	v_add3_u32 v7, v6, v7, 0x407ffff
	v_and_b32_e32 v9, 0xff00000, v7
	v_lshrrev_b32_e32 v7, 20, v7
	s_delay_alu instid0(VALU_DEP_2) | instskip(NEXT) | instid1(VALU_DEP_2)
	v_cmp_ne_u32_e32 vcc_lo, 0x7f00000, v9
	v_cndmask_b32_e32 v7, 0x7e, v7, vcc_lo
; %bb.1777:
	s_and_not1_saveexec_b32 s7, s7
; %bb.1778:
	v_add_f32_e64 v7, 0x46800000, |v6|
; %bb.1779:
	s_or_b32 exec_lo, exec_lo, s7
                                        ; implicit-def: $vgpr9
.LBB6_1780:
	s_and_not1_saveexec_b32 s6, s6
; %bb.1781:
	v_mov_b32_e32 v7, 0x7f
	v_cmp_lt_u32_e32 vcc_lo, 0x7f800000, v9
	s_delay_alu instid0(VALU_DEP_2)
	v_cndmask_b32_e32 v7, 0x7e, v7, vcc_lo
; %bb.1782:
	s_or_b32 exec_lo, exec_lo, s6
	v_lshrrev_b32_e32 v6, 24, v6
	s_delay_alu instid0(VALU_DEP_1)
	v_and_or_b32 v6, 0x80, v6, v7
	global_store_b8 v[10:11], v6, off
.LBB6_1783:
	s_mov_b32 s6, 0
.LBB6_1784:
	s_delay_alu instid0(SALU_CYCLE_1)
	s_and_not1_b32 vcc_lo, exec_lo, s6
	s_cbranch_vccnz .LBB6_1794
; %bb.1785:
	s_wait_xcnt 0x0
	v_cvt_f32_f64_e32 v6, v[4:5]
	s_mov_b32 s6, exec_lo
                                        ; implicit-def: $vgpr7
	s_delay_alu instid0(VALU_DEP_1) | instskip(NEXT) | instid1(VALU_DEP_1)
	v_and_b32_e32 v9, 0x7fffffff, v6
	v_cmpx_gt_u32_e32 0x47800000, v9
	s_xor_b32 s6, exec_lo, s6
	s_cbranch_execz .LBB6_1791
; %bb.1786:
	s_mov_b32 s7, exec_lo
                                        ; implicit-def: $vgpr7
	v_cmpx_lt_u32_e32 0x387fffff, v9
	s_xor_b32 s7, exec_lo, s7
; %bb.1787:
	v_bfe_u32 v7, v6, 21, 1
	s_delay_alu instid0(VALU_DEP_1) | instskip(NEXT) | instid1(VALU_DEP_1)
	v_add3_u32 v7, v6, v7, 0x80fffff
	v_lshrrev_b32_e32 v7, 21, v7
; %bb.1788:
	s_and_not1_saveexec_b32 s7, s7
; %bb.1789:
	v_add_f32_e64 v7, 0x43000000, |v6|
; %bb.1790:
	s_or_b32 exec_lo, exec_lo, s7
                                        ; implicit-def: $vgpr9
.LBB6_1791:
	s_and_not1_saveexec_b32 s6, s6
; %bb.1792:
	v_mov_b32_e32 v7, 0x7f
	v_cmp_lt_u32_e32 vcc_lo, 0x7f800000, v9
	s_delay_alu instid0(VALU_DEP_2)
	v_cndmask_b32_e32 v7, 0x7c, v7, vcc_lo
; %bb.1793:
	s_or_b32 exec_lo, exec_lo, s6
	v_lshrrev_b32_e32 v6, 24, v6
	s_delay_alu instid0(VALU_DEP_1)
	v_and_or_b32 v6, 0x80, v6, v7
	global_store_b8 v[10:11], v6, off
.LBB6_1794:
	s_mov_b32 s6, 0
	s_mov_b32 s7, -1
.LBB6_1795:
	s_and_not1_b32 vcc_lo, exec_lo, s6
	s_mov_b32 s6, 0
	s_cbranch_vccnz .LBB6_1802
; %bb.1796:
	s_cmp_gt_i32 s3, 14
	s_mov_b32 s6, -1
	s_cbranch_scc0 .LBB6_1800
; %bb.1797:
	s_cmp_eq_u32 s3, 15
	s_mov_b32 s0, -1
	s_cbranch_scc0 .LBB6_1799
; %bb.1798:
	s_wait_xcnt 0x0
	v_cvt_f32_f64_e32 v6, v[4:5]
	s_mov_b32 s0, 0
	s_mov_b32 s7, -1
	s_delay_alu instid0(VALU_DEP_1) | instskip(SKIP_1) | instid1(VALU_DEP_2)
	v_bfe_u32 v7, v6, 16, 1
	v_cmp_o_f32_e32 vcc_lo, v6, v6
	v_add3_u32 v7, v6, v7, 0x7fff
	s_delay_alu instid0(VALU_DEP_1) | instskip(NEXT) | instid1(VALU_DEP_1)
	v_lshrrev_b32_e32 v7, 16, v7
	v_cndmask_b32_e32 v6, 0x7fc0, v7, vcc_lo
	global_store_b16 v[10:11], v6, off
.LBB6_1799:
	s_mov_b32 s6, 0
.LBB6_1800:
	s_delay_alu instid0(SALU_CYCLE_1)
	s_and_b32 vcc_lo, exec_lo, s6
	s_mov_b32 s6, 0
	s_cbranch_vccz .LBB6_1802
; %bb.1801:
	s_cmp_lg_u32 s3, 11
	s_mov_b32 s6, -1
	s_cselect_b32 s0, -1, 0
.LBB6_1802:
	s_delay_alu instid0(SALU_CYCLE_1)
	s_and_b32 vcc_lo, exec_lo, s0
	s_cbranch_vccnz .LBB6_2052
; %bb.1803:
	s_and_not1_b32 vcc_lo, exec_lo, s6
	s_cbranch_vccnz .LBB6_1805
.LBB6_1804:
	v_cmp_neq_f64_e32 vcc_lo, 0, v[4:5]
	s_mov_b32 s7, -1
	s_wait_xcnt 0x0
	v_cndmask_b32_e64 v6, 0, 1, vcc_lo
	global_store_b8 v[10:11], v6, off
.LBB6_1805:
	s_mov_b32 s0, 0
	s_branch .LBB6_1807
.LBB6_1806:
	s_mov_b32 s0, -1
	s_mov_b32 s7, 0
.LBB6_1807:
	s_and_b32 vcc_lo, exec_lo, s0
	s_cbranch_vccz .LBB6_1846
; %bb.1808:
	s_and_b32 s0, 0xffff, s14
	s_mov_b32 s3, -1
	s_cmp_lt_i32 s0, 5
	s_cbranch_scc1 .LBB6_1829
; %bb.1809:
	s_cmp_lt_i32 s0, 8
	s_cbranch_scc1 .LBB6_1819
; %bb.1810:
	s_cmp_lt_i32 s0, 9
	s_cbranch_scc1 .LBB6_1816
; %bb.1811:
	s_cmp_gt_i32 s0, 9
	s_cbranch_scc0 .LBB6_1813
; %bb.1812:
	s_wait_xcnt 0x0
	v_mov_b32_e32 v6, 0
	s_mov_b32 s3, 0
	s_delay_alu instid0(VALU_DEP_1)
	v_mov_b32_e32 v7, v6
	global_store_b128 v[10:11], v[4:7], off
.LBB6_1813:
	s_and_not1_b32 vcc_lo, exec_lo, s3
	s_cbranch_vccnz .LBB6_1815
; %bb.1814:
	s_wait_xcnt 0x0
	v_cvt_f32_f64_e32 v6, v[4:5]
	v_mov_b32_e32 v7, 0
	global_store_b64 v[10:11], v[6:7], off
.LBB6_1815:
	s_mov_b32 s3, 0
.LBB6_1816:
	s_delay_alu instid0(SALU_CYCLE_1)
	s_and_not1_b32 vcc_lo, exec_lo, s3
	s_cbranch_vccnz .LBB6_1818
; %bb.1817:
	s_wait_xcnt 0x0
	v_and_or_b32 v6, 0x1ff, v5, v4
	v_lshrrev_b32_e32 v7, 8, v5
	v_bfe_u32 v9, v5, 20, 11
	s_delay_alu instid0(VALU_DEP_3) | instskip(NEXT) | instid1(VALU_DEP_2)
	v_cmp_ne_u32_e32 vcc_lo, 0, v6
	v_sub_nc_u32_e32 v12, 0x3f1, v9
	v_add_nc_u32_e32 v9, 0xfffffc10, v9
	v_cndmask_b32_e64 v6, 0, 1, vcc_lo
	s_delay_alu instid0(VALU_DEP_1) | instskip(NEXT) | instid1(VALU_DEP_4)
	v_and_or_b32 v6, 0xffe, v7, v6
	v_med3_i32 v7, v12, 0, 13
	s_delay_alu instid0(VALU_DEP_2) | instskip(NEXT) | instid1(VALU_DEP_1)
	v_or_b32_e32 v12, 0x1000, v6
	v_lshrrev_b32_e32 v13, v7, v12
	s_delay_alu instid0(VALU_DEP_1) | instskip(NEXT) | instid1(VALU_DEP_1)
	v_lshlrev_b32_e32 v7, v7, v13
	v_cmp_ne_u32_e32 vcc_lo, v7, v12
	v_lshl_or_b32 v12, v9, 12, v6
	v_cndmask_b32_e64 v7, 0, 1, vcc_lo
	v_cmp_gt_i32_e32 vcc_lo, 1, v9
	s_delay_alu instid0(VALU_DEP_2) | instskip(NEXT) | instid1(VALU_DEP_1)
	v_or_b32_e32 v7, v13, v7
	v_cndmask_b32_e32 v7, v12, v7, vcc_lo
	s_delay_alu instid0(VALU_DEP_1) | instskip(NEXT) | instid1(VALU_DEP_1)
	v_dual_lshrrev_b32 v7, 2, v7 :: v_dual_bitop2_b32 v12, 7, v7 bitop3:0x40
	v_cmp_lt_i32_e32 vcc_lo, 5, v12
	v_cndmask_b32_e64 v13, 0, 1, vcc_lo
	v_cmp_eq_u32_e32 vcc_lo, 3, v12
	v_cndmask_b32_e64 v12, 0, 1, vcc_lo
	v_cmp_ne_u32_e32 vcc_lo, 0, v6
	s_delay_alu instid0(VALU_DEP_2) | instskip(SKIP_1) | instid1(VALU_DEP_1)
	v_or_b32_e32 v12, v12, v13
	v_mov_b32_e32 v13, 0x7e00
	v_dual_cndmask_b32 v6, 0x7c00, v13 :: v_dual_add_nc_u32 v7, v7, v12
	v_cmp_gt_i32_e32 vcc_lo, 31, v9
	s_delay_alu instid0(VALU_DEP_2) | instskip(SKIP_1) | instid1(VALU_DEP_2)
	v_dual_cndmask_b32 v7, 0x7c00, v7 :: v_dual_lshrrev_b32 v12, 16, v5
	v_cmp_eq_u32_e32 vcc_lo, 0x40f, v9
	v_cndmask_b32_e32 v6, v7, v6, vcc_lo
	s_delay_alu instid0(VALU_DEP_3) | instskip(NEXT) | instid1(VALU_DEP_1)
	v_and_b32_e32 v7, 0x8000, v12
	v_bitop3_b32 v6, v7, 0xffff, v6 bitop3:0xc8
	global_store_b32 v[10:11], v6, off
.LBB6_1818:
	s_mov_b32 s3, 0
.LBB6_1819:
	s_delay_alu instid0(SALU_CYCLE_1)
	s_and_not1_b32 vcc_lo, exec_lo, s3
	s_cbranch_vccnz .LBB6_1828
; %bb.1820:
	s_cmp_lt_i32 s0, 6
	s_mov_b32 s3, -1
	s_cbranch_scc1 .LBB6_1826
; %bb.1821:
	s_cmp_gt_i32 s0, 6
	s_cbranch_scc0 .LBB6_1823
; %bb.1822:
	s_mov_b32 s3, 0
	global_store_b64 v[10:11], v[4:5], off
.LBB6_1823:
	s_and_not1_b32 vcc_lo, exec_lo, s3
	s_cbranch_vccnz .LBB6_1825
; %bb.1824:
	s_wait_xcnt 0x0
	v_cvt_f32_f64_e32 v6, v[4:5]
	global_store_b32 v[10:11], v6, off
.LBB6_1825:
	s_mov_b32 s3, 0
.LBB6_1826:
	s_delay_alu instid0(SALU_CYCLE_1)
	s_and_not1_b32 vcc_lo, exec_lo, s3
	s_cbranch_vccnz .LBB6_1828
; %bb.1827:
	s_wait_xcnt 0x0
	v_and_or_b32 v6, 0x1ff, v5, v4
	v_lshrrev_b32_e32 v7, 8, v5
	v_bfe_u32 v9, v5, 20, 11
	s_delay_alu instid0(VALU_DEP_3) | instskip(NEXT) | instid1(VALU_DEP_2)
	v_cmp_ne_u32_e32 vcc_lo, 0, v6
	v_sub_nc_u32_e32 v12, 0x3f1, v9
	v_add_nc_u32_e32 v9, 0xfffffc10, v9
	v_cndmask_b32_e64 v6, 0, 1, vcc_lo
	s_delay_alu instid0(VALU_DEP_1) | instskip(NEXT) | instid1(VALU_DEP_4)
	v_and_or_b32 v6, 0xffe, v7, v6
	v_med3_i32 v7, v12, 0, 13
	s_delay_alu instid0(VALU_DEP_2) | instskip(NEXT) | instid1(VALU_DEP_1)
	v_or_b32_e32 v12, 0x1000, v6
	v_lshrrev_b32_e32 v13, v7, v12
	s_delay_alu instid0(VALU_DEP_1) | instskip(NEXT) | instid1(VALU_DEP_1)
	v_lshlrev_b32_e32 v7, v7, v13
	v_cmp_ne_u32_e32 vcc_lo, v7, v12
	v_lshl_or_b32 v12, v9, 12, v6
	v_cndmask_b32_e64 v7, 0, 1, vcc_lo
	v_cmp_gt_i32_e32 vcc_lo, 1, v9
	s_delay_alu instid0(VALU_DEP_2) | instskip(NEXT) | instid1(VALU_DEP_1)
	v_or_b32_e32 v7, v13, v7
	v_cndmask_b32_e32 v7, v12, v7, vcc_lo
	s_delay_alu instid0(VALU_DEP_1) | instskip(NEXT) | instid1(VALU_DEP_1)
	v_dual_lshrrev_b32 v7, 2, v7 :: v_dual_bitop2_b32 v12, 7, v7 bitop3:0x40
	v_cmp_lt_i32_e32 vcc_lo, 5, v12
	v_cndmask_b32_e64 v13, 0, 1, vcc_lo
	v_cmp_eq_u32_e32 vcc_lo, 3, v12
	v_cndmask_b32_e64 v12, 0, 1, vcc_lo
	v_cmp_ne_u32_e32 vcc_lo, 0, v6
	s_delay_alu instid0(VALU_DEP_2) | instskip(SKIP_1) | instid1(VALU_DEP_1)
	v_or_b32_e32 v12, v12, v13
	v_mov_b32_e32 v13, 0x7e00
	v_dual_cndmask_b32 v6, 0x7c00, v13 :: v_dual_add_nc_u32 v7, v7, v12
	v_cmp_gt_i32_e32 vcc_lo, 31, v9
	s_delay_alu instid0(VALU_DEP_2) | instskip(SKIP_1) | instid1(VALU_DEP_2)
	v_cndmask_b32_e32 v7, 0x7c00, v7, vcc_lo
	v_cmp_eq_u32_e32 vcc_lo, 0x40f, v9
	v_dual_cndmask_b32 v6, v7, v6 :: v_dual_lshrrev_b32 v7, 16, v5
	s_delay_alu instid0(VALU_DEP_1)
	v_and_or_b32 v6, 0x8000, v7, v6
	global_store_b16 v[10:11], v6, off
.LBB6_1828:
	s_mov_b32 s3, 0
.LBB6_1829:
	s_delay_alu instid0(SALU_CYCLE_1)
	s_and_not1_b32 vcc_lo, exec_lo, s3
	s_cbranch_vccnz .LBB6_1845
; %bb.1830:
	s_cmp_lt_i32 s0, 2
	s_mov_b32 s3, -1
	s_cbranch_scc1 .LBB6_1840
; %bb.1831:
	s_cmp_lt_i32 s0, 3
	s_cbranch_scc1 .LBB6_1837
; %bb.1832:
	s_cmp_gt_i32 s0, 3
	s_cbranch_scc0 .LBB6_1834
; %bb.1833:
	s_wait_xcnt 0x0
	v_trunc_f64_e32 v[6:7], v[4:5]
	s_mov_b32 s3, 0
	s_delay_alu instid0(VALU_DEP_1) | instskip(NEXT) | instid1(VALU_DEP_1)
	v_ldexp_f64 v[12:13], v[6:7], 0xffffffe0
	v_floor_f64_e32 v[12:13], v[12:13]
	s_delay_alu instid0(VALU_DEP_1) | instskip(SKIP_1) | instid1(VALU_DEP_2)
	v_fmamk_f64 v[6:7], v[12:13], 0xc1f00000, v[6:7]
	v_cvt_i32_f64_e32 v13, v[12:13]
	v_cvt_u32_f64_e32 v12, v[6:7]
	global_store_b64 v[10:11], v[12:13], off
.LBB6_1834:
	s_and_not1_b32 vcc_lo, exec_lo, s3
	s_cbranch_vccnz .LBB6_1836
; %bb.1835:
	s_wait_xcnt 0x0
	v_cvt_i32_f64_e32 v6, v[4:5]
	global_store_b32 v[10:11], v6, off
.LBB6_1836:
	s_mov_b32 s3, 0
.LBB6_1837:
	s_delay_alu instid0(SALU_CYCLE_1)
	s_and_not1_b32 vcc_lo, exec_lo, s3
	s_cbranch_vccnz .LBB6_1839
; %bb.1838:
	s_wait_xcnt 0x0
	v_cvt_i32_f64_e32 v6, v[4:5]
	global_store_b16 v[10:11], v6, off
.LBB6_1839:
	s_mov_b32 s3, 0
.LBB6_1840:
	s_delay_alu instid0(SALU_CYCLE_1)
	s_and_not1_b32 vcc_lo, exec_lo, s3
	s_cbranch_vccnz .LBB6_1845
; %bb.1841:
	s_cmp_gt_i32 s0, 0
	s_mov_b32 s0, -1
	s_cbranch_scc0 .LBB6_1843
; %bb.1842:
	s_wait_xcnt 0x0
	v_cvt_i32_f64_e32 v6, v[4:5]
	s_mov_b32 s0, 0
	global_store_b8 v[10:11], v6, off
.LBB6_1843:
	s_and_not1_b32 vcc_lo, exec_lo, s0
	s_cbranch_vccnz .LBB6_1845
; %bb.1844:
	s_wait_xcnt 0x0
	v_trunc_f64_e32 v[4:5], v[4:5]
	s_delay_alu instid0(VALU_DEP_1) | instskip(NEXT) | instid1(VALU_DEP_1)
	v_ldexp_f64 v[6:7], v[4:5], 0xffffffe0
	v_floor_f64_e32 v[6:7], v[6:7]
	s_delay_alu instid0(VALU_DEP_1) | instskip(NEXT) | instid1(VALU_DEP_1)
	v_fmamk_f64 v[4:5], v[6:7], 0xc1f00000, v[4:5]
	v_cvt_u32_f64_e32 v4, v[4:5]
	global_store_b8 v[10:11], v4, off
.LBB6_1845:
	s_mov_b32 s7, -1
.LBB6_1846:
	s_delay_alu instid0(SALU_CYCLE_1)
	s_and_not1_b32 vcc_lo, exec_lo, s7
	s_cbranch_vccnz .LBB6_2042
; %bb.1847:
	s_wait_xcnt 0x0
	v_add_nc_u32_e32 v6, s2, v8
	s_cmp_lt_i32 s14, 11
	s_delay_alu instid0(VALU_DEP_1) | instskip(NEXT) | instid1(VALU_DEP_1)
	v_ashrrev_i32_e32 v7, 31, v6
	v_add_nc_u64_e32 v[8:9], s[4:5], v[6:7]
	s_cbranch_scc1 .LBB6_1925
; %bb.1848:
	s_and_b32 s3, 0xffff, s14
	s_mov_b32 s8, -1
	s_mov_b32 s6, 0
	s_cmp_gt_i32 s3, 25
	s_mov_b32 s7, 0
	s_mov_b32 s0, 0
	s_cbranch_scc0 .LBB6_1881
; %bb.1849:
	s_cmp_gt_i32 s3, 28
	s_cbranch_scc0 .LBB6_1864
; %bb.1850:
	s_cmp_gt_i32 s3, 43
	;; [unrolled: 3-line block ×3, first 2 shown]
	s_cbranch_scc0 .LBB6_1854
; %bb.1852:
	s_mov_b32 s0, -1
	s_mov_b32 s8, 0
	s_cmp_eq_u32 s3, 46
	s_cbranch_scc0 .LBB6_1854
; %bb.1853:
	v_cvt_f32_f64_e32 v4, v[2:3]
	s_mov_b32 s0, 0
	s_mov_b32 s7, -1
	s_delay_alu instid0(VALU_DEP_1) | instskip(SKIP_1) | instid1(VALU_DEP_2)
	v_bfe_u32 v5, v4, 16, 1
	v_cmp_o_f32_e32 vcc_lo, v4, v4
	v_add3_u32 v5, v4, v5, 0x7fff
	s_delay_alu instid0(VALU_DEP_1) | instskip(NEXT) | instid1(VALU_DEP_1)
	v_lshrrev_b32_e32 v5, 16, v5
	v_cndmask_b32_e32 v4, 0x7fc0, v5, vcc_lo
	global_store_b32 v[8:9], v4, off
.LBB6_1854:
	s_and_b32 vcc_lo, exec_lo, s8
	s_cbranch_vccz .LBB6_1859
; %bb.1855:
	s_cmp_eq_u32 s3, 44
	s_mov_b32 s0, -1
	s_cbranch_scc0 .LBB6_1859
; %bb.1856:
	s_wait_xcnt 0x0
	v_cvt_f32_f64_e32 v4, v[2:3]
	v_mov_b32_e32 v5, 0xff
	s_mov_b32 s7, exec_lo
	s_delay_alu instid0(VALU_DEP_2) | instskip(NEXT) | instid1(VALU_DEP_1)
	v_bfe_u32 v7, v4, 23, 8
	v_cmpx_ne_u32_e32 0xff, v7
	s_cbranch_execz .LBB6_1858
; %bb.1857:
	v_and_b32_e32 v5, 0x400000, v4
	v_and_or_b32 v7, 0x3fffff, v4, v7
	v_lshrrev_b32_e32 v4, 23, v4
	s_delay_alu instid0(VALU_DEP_3) | instskip(NEXT) | instid1(VALU_DEP_3)
	v_cmp_ne_u32_e32 vcc_lo, 0, v5
	v_cmp_ne_u32_e64 s0, 0, v7
	s_and_b32 s0, vcc_lo, s0
	s_delay_alu instid0(SALU_CYCLE_1) | instskip(NEXT) | instid1(VALU_DEP_1)
	v_cndmask_b32_e64 v5, 0, 1, s0
	v_add_nc_u32_e32 v5, v4, v5
.LBB6_1858:
	s_or_b32 exec_lo, exec_lo, s7
	s_mov_b32 s0, 0
	s_mov_b32 s7, -1
	global_store_b8 v[8:9], v5, off
.LBB6_1859:
	s_mov_b32 s8, 0
.LBB6_1860:
	s_delay_alu instid0(SALU_CYCLE_1)
	s_and_b32 vcc_lo, exec_lo, s8
	s_cbranch_vccz .LBB6_1863
; %bb.1861:
	s_cmp_eq_u32 s3, 29
	s_mov_b32 s0, -1
	s_cbranch_scc0 .LBB6_1863
; %bb.1862:
	s_wait_xcnt 0x0
	v_trunc_f64_e32 v[4:5], v[2:3]
	s_mov_b32 s0, 0
	s_mov_b32 s7, -1
	s_delay_alu instid0(VALU_DEP_1) | instskip(NEXT) | instid1(VALU_DEP_1)
	v_ldexp_f64 v[10:11], v[4:5], 0xffffffe0
	v_floor_f64_e32 v[10:11], v[10:11]
	s_delay_alu instid0(VALU_DEP_1) | instskip(SKIP_1) | instid1(VALU_DEP_2)
	v_fmamk_f64 v[4:5], v[10:11], 0xc1f00000, v[4:5]
	v_cvt_u32_f64_e32 v11, v[10:11]
	v_cvt_u32_f64_e32 v10, v[4:5]
	global_store_b64 v[8:9], v[10:11], off
.LBB6_1863:
	s_mov_b32 s8, 0
.LBB6_1864:
	s_delay_alu instid0(SALU_CYCLE_1)
	s_and_b32 vcc_lo, exec_lo, s8
	s_cbranch_vccz .LBB6_1880
; %bb.1865:
	s_cmp_lt_i32 s3, 27
	s_mov_b32 s7, -1
	s_cbranch_scc1 .LBB6_1871
; %bb.1866:
	s_wait_xcnt 0x0
	v_cvt_u32_f64_e32 v4, v[2:3]
	s_cmp_gt_i32 s3, 27
	s_cbranch_scc0 .LBB6_1868
; %bb.1867:
	s_mov_b32 s7, 0
	global_store_b32 v[8:9], v4, off
.LBB6_1868:
	s_and_not1_b32 vcc_lo, exec_lo, s7
	s_cbranch_vccnz .LBB6_1870
; %bb.1869:
	global_store_b16 v[8:9], v4, off
.LBB6_1870:
	s_mov_b32 s7, 0
.LBB6_1871:
	s_delay_alu instid0(SALU_CYCLE_1)
	s_and_not1_b32 vcc_lo, exec_lo, s7
	s_cbranch_vccnz .LBB6_1879
; %bb.1872:
	s_wait_xcnt 0x0
	v_cvt_f32_f64_e32 v4, v[2:3]
	v_mov_b32_e32 v7, 0x80
	s_mov_b32 s7, exec_lo
	s_delay_alu instid0(VALU_DEP_2) | instskip(NEXT) | instid1(VALU_DEP_1)
	v_and_b32_e32 v5, 0x7fffffff, v4
	v_cmpx_gt_u32_e32 0x43800000, v5
	s_cbranch_execz .LBB6_1878
; %bb.1873:
	v_cmp_lt_u32_e32 vcc_lo, 0x3bffffff, v5
	s_mov_b32 s8, 0
                                        ; implicit-def: $vgpr5
	s_and_saveexec_b32 s9, vcc_lo
	s_delay_alu instid0(SALU_CYCLE_1)
	s_xor_b32 s9, exec_lo, s9
	s_cbranch_execz .LBB6_2055
; %bb.1874:
	v_bfe_u32 v5, v4, 20, 1
	s_mov_b32 s8, exec_lo
	s_delay_alu instid0(VALU_DEP_1) | instskip(NEXT) | instid1(VALU_DEP_1)
	v_add3_u32 v5, v4, v5, 0x487ffff
	v_lshrrev_b32_e32 v5, 20, v5
	s_and_not1_saveexec_b32 s9, s9
	s_cbranch_execnz .LBB6_2056
.LBB6_1875:
	s_or_b32 exec_lo, exec_lo, s9
	v_mov_b32_e32 v7, 0
	s_and_saveexec_b32 s9, s8
.LBB6_1876:
	v_lshrrev_b32_e32 v4, 24, v4
	s_delay_alu instid0(VALU_DEP_1)
	v_and_or_b32 v7, 0x80, v4, v5
.LBB6_1877:
	s_or_b32 exec_lo, exec_lo, s9
.LBB6_1878:
	s_delay_alu instid0(SALU_CYCLE_1)
	s_or_b32 exec_lo, exec_lo, s7
	global_store_b8 v[8:9], v7, off
.LBB6_1879:
	s_mov_b32 s7, -1
.LBB6_1880:
	s_mov_b32 s8, 0
.LBB6_1881:
	s_delay_alu instid0(SALU_CYCLE_1)
	s_and_b32 vcc_lo, exec_lo, s8
	s_cbranch_vccz .LBB6_1921
; %bb.1882:
	s_cmp_gt_i32 s3, 22
	s_mov_b32 s6, -1
	s_cbranch_scc0 .LBB6_1914
; %bb.1883:
	s_cmp_lt_i32 s3, 24
	s_cbranch_scc1 .LBB6_1903
; %bb.1884:
	s_cmp_gt_i32 s3, 24
	s_cbranch_scc0 .LBB6_1892
; %bb.1885:
	s_wait_xcnt 0x0
	v_cvt_f32_f64_e32 v4, v[2:3]
	v_mov_b32_e32 v7, 0x80
	s_mov_b32 s6, exec_lo
	s_delay_alu instid0(VALU_DEP_2) | instskip(NEXT) | instid1(VALU_DEP_1)
	v_and_b32_e32 v5, 0x7fffffff, v4
	v_cmpx_gt_u32_e32 0x47800000, v5
	s_cbranch_execz .LBB6_1891
; %bb.1886:
	v_cmp_lt_u32_e32 vcc_lo, 0x37ffffff, v5
	s_mov_b32 s7, 0
                                        ; implicit-def: $vgpr5
	s_and_saveexec_b32 s8, vcc_lo
	s_delay_alu instid0(SALU_CYCLE_1)
	s_xor_b32 s8, exec_lo, s8
	s_cbranch_execz .LBB6_2058
; %bb.1887:
	v_bfe_u32 v5, v4, 21, 1
	s_mov_b32 s7, exec_lo
	s_delay_alu instid0(VALU_DEP_1) | instskip(NEXT) | instid1(VALU_DEP_1)
	v_add3_u32 v5, v4, v5, 0x88fffff
	v_lshrrev_b32_e32 v5, 21, v5
	s_and_not1_saveexec_b32 s8, s8
	s_cbranch_execnz .LBB6_2059
.LBB6_1888:
	s_or_b32 exec_lo, exec_lo, s8
	v_mov_b32_e32 v7, 0
	s_and_saveexec_b32 s8, s7
.LBB6_1889:
	v_lshrrev_b32_e32 v4, 24, v4
	s_delay_alu instid0(VALU_DEP_1)
	v_and_or_b32 v7, 0x80, v4, v5
.LBB6_1890:
	s_or_b32 exec_lo, exec_lo, s8
.LBB6_1891:
	s_delay_alu instid0(SALU_CYCLE_1)
	s_or_b32 exec_lo, exec_lo, s6
	s_mov_b32 s6, 0
	global_store_b8 v[8:9], v7, off
.LBB6_1892:
	s_and_b32 vcc_lo, exec_lo, s6
	s_cbranch_vccz .LBB6_1902
; %bb.1893:
	s_wait_xcnt 0x0
	v_cvt_f32_f64_e32 v4, v[2:3]
	s_mov_b32 s6, exec_lo
                                        ; implicit-def: $vgpr5
	s_delay_alu instid0(VALU_DEP_1) | instskip(NEXT) | instid1(VALU_DEP_1)
	v_and_b32_e32 v7, 0x7fffffff, v4
	v_cmpx_gt_u32_e32 0x43f00000, v7
	s_xor_b32 s6, exec_lo, s6
	s_cbranch_execz .LBB6_1899
; %bb.1894:
	s_mov_b32 s7, exec_lo
                                        ; implicit-def: $vgpr5
	v_cmpx_lt_u32_e32 0x3c7fffff, v7
	s_xor_b32 s7, exec_lo, s7
; %bb.1895:
	v_bfe_u32 v5, v4, 20, 1
	s_delay_alu instid0(VALU_DEP_1) | instskip(NEXT) | instid1(VALU_DEP_1)
	v_add3_u32 v5, v4, v5, 0x407ffff
	v_and_b32_e32 v7, 0xff00000, v5
	v_lshrrev_b32_e32 v5, 20, v5
	s_delay_alu instid0(VALU_DEP_2) | instskip(NEXT) | instid1(VALU_DEP_2)
	v_cmp_ne_u32_e32 vcc_lo, 0x7f00000, v7
	v_cndmask_b32_e32 v5, 0x7e, v5, vcc_lo
; %bb.1896:
	s_and_not1_saveexec_b32 s7, s7
; %bb.1897:
	v_add_f32_e64 v5, 0x46800000, |v4|
; %bb.1898:
	s_or_b32 exec_lo, exec_lo, s7
                                        ; implicit-def: $vgpr7
.LBB6_1899:
	s_and_not1_saveexec_b32 s6, s6
; %bb.1900:
	v_mov_b32_e32 v5, 0x7f
	v_cmp_lt_u32_e32 vcc_lo, 0x7f800000, v7
	s_delay_alu instid0(VALU_DEP_2)
	v_cndmask_b32_e32 v5, 0x7e, v5, vcc_lo
; %bb.1901:
	s_or_b32 exec_lo, exec_lo, s6
	v_lshrrev_b32_e32 v4, 24, v4
	s_delay_alu instid0(VALU_DEP_1)
	v_and_or_b32 v4, 0x80, v4, v5
	global_store_b8 v[8:9], v4, off
.LBB6_1902:
	s_mov_b32 s6, 0
.LBB6_1903:
	s_delay_alu instid0(SALU_CYCLE_1)
	s_and_not1_b32 vcc_lo, exec_lo, s6
	s_cbranch_vccnz .LBB6_1913
; %bb.1904:
	s_wait_xcnt 0x0
	v_cvt_f32_f64_e32 v4, v[2:3]
	s_mov_b32 s6, exec_lo
                                        ; implicit-def: $vgpr5
	s_delay_alu instid0(VALU_DEP_1) | instskip(NEXT) | instid1(VALU_DEP_1)
	v_and_b32_e32 v7, 0x7fffffff, v4
	v_cmpx_gt_u32_e32 0x47800000, v7
	s_xor_b32 s6, exec_lo, s6
	s_cbranch_execz .LBB6_1910
; %bb.1905:
	s_mov_b32 s7, exec_lo
                                        ; implicit-def: $vgpr5
	v_cmpx_lt_u32_e32 0x387fffff, v7
	s_xor_b32 s7, exec_lo, s7
; %bb.1906:
	v_bfe_u32 v5, v4, 21, 1
	s_delay_alu instid0(VALU_DEP_1) | instskip(NEXT) | instid1(VALU_DEP_1)
	v_add3_u32 v5, v4, v5, 0x80fffff
	v_lshrrev_b32_e32 v5, 21, v5
; %bb.1907:
	s_and_not1_saveexec_b32 s7, s7
; %bb.1908:
	v_add_f32_e64 v5, 0x43000000, |v4|
; %bb.1909:
	s_or_b32 exec_lo, exec_lo, s7
                                        ; implicit-def: $vgpr7
.LBB6_1910:
	s_and_not1_saveexec_b32 s6, s6
; %bb.1911:
	v_mov_b32_e32 v5, 0x7f
	v_cmp_lt_u32_e32 vcc_lo, 0x7f800000, v7
	s_delay_alu instid0(VALU_DEP_2)
	v_cndmask_b32_e32 v5, 0x7c, v5, vcc_lo
; %bb.1912:
	s_or_b32 exec_lo, exec_lo, s6
	v_lshrrev_b32_e32 v4, 24, v4
	s_delay_alu instid0(VALU_DEP_1)
	v_and_or_b32 v4, 0x80, v4, v5
	global_store_b8 v[8:9], v4, off
.LBB6_1913:
	s_mov_b32 s6, 0
	s_mov_b32 s7, -1
.LBB6_1914:
	s_and_not1_b32 vcc_lo, exec_lo, s6
	s_mov_b32 s6, 0
	s_cbranch_vccnz .LBB6_1921
; %bb.1915:
	s_cmp_gt_i32 s3, 14
	s_mov_b32 s6, -1
	s_cbranch_scc0 .LBB6_1919
; %bb.1916:
	s_cmp_eq_u32 s3, 15
	s_mov_b32 s0, -1
	s_cbranch_scc0 .LBB6_1918
; %bb.1917:
	s_wait_xcnt 0x0
	v_cvt_f32_f64_e32 v4, v[2:3]
	s_mov_b32 s0, 0
	s_mov_b32 s7, -1
	s_delay_alu instid0(VALU_DEP_1) | instskip(SKIP_1) | instid1(VALU_DEP_2)
	v_bfe_u32 v5, v4, 16, 1
	v_cmp_o_f32_e32 vcc_lo, v4, v4
	v_add3_u32 v5, v4, v5, 0x7fff
	s_delay_alu instid0(VALU_DEP_1) | instskip(NEXT) | instid1(VALU_DEP_1)
	v_lshrrev_b32_e32 v5, 16, v5
	v_cndmask_b32_e32 v4, 0x7fc0, v5, vcc_lo
	global_store_b16 v[8:9], v4, off
.LBB6_1918:
	s_mov_b32 s6, 0
.LBB6_1919:
	s_delay_alu instid0(SALU_CYCLE_1)
	s_and_b32 vcc_lo, exec_lo, s6
	s_mov_b32 s6, 0
	s_cbranch_vccz .LBB6_1921
; %bb.1920:
	s_cmp_lg_u32 s3, 11
	s_mov_b32 s6, -1
	s_cselect_b32 s0, -1, 0
.LBB6_1921:
	s_delay_alu instid0(SALU_CYCLE_1)
	s_and_b32 vcc_lo, exec_lo, s0
	s_cbranch_vccnz .LBB6_2057
; %bb.1922:
	s_and_not1_b32 vcc_lo, exec_lo, s6
	s_cbranch_vccnz .LBB6_1924
.LBB6_1923:
	v_cmp_neq_f64_e32 vcc_lo, 0, v[2:3]
	s_mov_b32 s7, -1
	s_wait_xcnt 0x0
	v_cndmask_b32_e64 v4, 0, 1, vcc_lo
	global_store_b8 v[8:9], v4, off
.LBB6_1924:
	s_mov_b32 s0, 0
	s_branch .LBB6_1926
.LBB6_1925:
	s_mov_b32 s0, -1
	s_mov_b32 s7, 0
.LBB6_1926:
	s_and_b32 vcc_lo, exec_lo, s0
	s_cbranch_vccz .LBB6_1965
; %bb.1927:
	s_and_b32 s0, 0xffff, s14
	s_mov_b32 s3, -1
	s_cmp_lt_i32 s0, 5
	s_cbranch_scc1 .LBB6_1948
; %bb.1928:
	s_cmp_lt_i32 s0, 8
	s_cbranch_scc1 .LBB6_1938
; %bb.1929:
	;; [unrolled: 3-line block ×3, first 2 shown]
	s_cmp_gt_i32 s0, 9
	s_cbranch_scc0 .LBB6_1932
; %bb.1931:
	s_wait_xcnt 0x0
	v_mov_b32_e32 v4, 0
	s_mov_b32 s3, 0
	s_delay_alu instid0(VALU_DEP_1)
	v_mov_b32_e32 v5, v4
	global_store_b128 v[8:9], v[2:5], off
.LBB6_1932:
	s_and_not1_b32 vcc_lo, exec_lo, s3
	s_cbranch_vccnz .LBB6_1934
; %bb.1933:
	s_wait_xcnt 0x0
	v_cvt_f32_f64_e32 v4, v[2:3]
	v_mov_b32_e32 v5, 0
	global_store_b64 v[8:9], v[4:5], off
.LBB6_1934:
	s_mov_b32 s3, 0
.LBB6_1935:
	s_delay_alu instid0(SALU_CYCLE_1)
	s_and_not1_b32 vcc_lo, exec_lo, s3
	s_cbranch_vccnz .LBB6_1937
; %bb.1936:
	s_wait_xcnt 0x0
	v_and_or_b32 v4, 0x1ff, v3, v2
	v_lshrrev_b32_e32 v5, 8, v3
	v_bfe_u32 v7, v3, 20, 11
	s_delay_alu instid0(VALU_DEP_3) | instskip(NEXT) | instid1(VALU_DEP_2)
	v_cmp_ne_u32_e32 vcc_lo, 0, v4
	v_sub_nc_u32_e32 v10, 0x3f1, v7
	v_add_nc_u32_e32 v7, 0xfffffc10, v7
	v_cndmask_b32_e64 v4, 0, 1, vcc_lo
	s_delay_alu instid0(VALU_DEP_1) | instskip(NEXT) | instid1(VALU_DEP_4)
	v_and_or_b32 v4, 0xffe, v5, v4
	v_med3_i32 v5, v10, 0, 13
	s_delay_alu instid0(VALU_DEP_2) | instskip(NEXT) | instid1(VALU_DEP_1)
	v_or_b32_e32 v10, 0x1000, v4
	v_lshrrev_b32_e32 v11, v5, v10
	s_delay_alu instid0(VALU_DEP_1) | instskip(NEXT) | instid1(VALU_DEP_1)
	v_lshlrev_b32_e32 v5, v5, v11
	v_cmp_ne_u32_e32 vcc_lo, v5, v10
	v_lshl_or_b32 v10, v7, 12, v4
	v_cndmask_b32_e64 v5, 0, 1, vcc_lo
	v_cmp_gt_i32_e32 vcc_lo, 1, v7
	s_delay_alu instid0(VALU_DEP_2) | instskip(NEXT) | instid1(VALU_DEP_1)
	v_or_b32_e32 v5, v11, v5
	v_cndmask_b32_e32 v5, v10, v5, vcc_lo
	s_delay_alu instid0(VALU_DEP_1) | instskip(NEXT) | instid1(VALU_DEP_1)
	v_dual_lshrrev_b32 v5, 2, v5 :: v_dual_bitop2_b32 v10, 7, v5 bitop3:0x40
	v_cmp_lt_i32_e32 vcc_lo, 5, v10
	v_cndmask_b32_e64 v11, 0, 1, vcc_lo
	v_cmp_eq_u32_e32 vcc_lo, 3, v10
	v_cndmask_b32_e64 v10, 0, 1, vcc_lo
	v_cmp_ne_u32_e32 vcc_lo, 0, v4
	s_delay_alu instid0(VALU_DEP_2) | instskip(SKIP_1) | instid1(VALU_DEP_1)
	v_or_b32_e32 v10, v10, v11
	v_mov_b32_e32 v11, 0x7e00
	v_dual_cndmask_b32 v4, 0x7c00, v11 :: v_dual_add_nc_u32 v5, v5, v10
	v_cmp_gt_i32_e32 vcc_lo, 31, v7
	s_delay_alu instid0(VALU_DEP_2) | instskip(SKIP_1) | instid1(VALU_DEP_2)
	v_dual_cndmask_b32 v5, 0x7c00, v5 :: v_dual_lshrrev_b32 v10, 16, v3
	v_cmp_eq_u32_e32 vcc_lo, 0x40f, v7
	v_cndmask_b32_e32 v4, v5, v4, vcc_lo
	s_delay_alu instid0(VALU_DEP_3) | instskip(NEXT) | instid1(VALU_DEP_1)
	v_and_b32_e32 v5, 0x8000, v10
	v_bitop3_b32 v4, v5, 0xffff, v4 bitop3:0xc8
	global_store_b32 v[8:9], v4, off
.LBB6_1937:
	s_mov_b32 s3, 0
.LBB6_1938:
	s_delay_alu instid0(SALU_CYCLE_1)
	s_and_not1_b32 vcc_lo, exec_lo, s3
	s_cbranch_vccnz .LBB6_1947
; %bb.1939:
	s_cmp_lt_i32 s0, 6
	s_mov_b32 s3, -1
	s_cbranch_scc1 .LBB6_1945
; %bb.1940:
	s_cmp_gt_i32 s0, 6
	s_cbranch_scc0 .LBB6_1942
; %bb.1941:
	s_mov_b32 s3, 0
	global_store_b64 v[8:9], v[2:3], off
.LBB6_1942:
	s_and_not1_b32 vcc_lo, exec_lo, s3
	s_cbranch_vccnz .LBB6_1944
; %bb.1943:
	s_wait_xcnt 0x0
	v_cvt_f32_f64_e32 v4, v[2:3]
	global_store_b32 v[8:9], v4, off
.LBB6_1944:
	s_mov_b32 s3, 0
.LBB6_1945:
	s_delay_alu instid0(SALU_CYCLE_1)
	s_and_not1_b32 vcc_lo, exec_lo, s3
	s_cbranch_vccnz .LBB6_1947
; %bb.1946:
	s_wait_xcnt 0x0
	v_and_or_b32 v4, 0x1ff, v3, v2
	v_lshrrev_b32_e32 v5, 8, v3
	v_bfe_u32 v7, v3, 20, 11
	s_delay_alu instid0(VALU_DEP_3) | instskip(NEXT) | instid1(VALU_DEP_2)
	v_cmp_ne_u32_e32 vcc_lo, 0, v4
	v_sub_nc_u32_e32 v10, 0x3f1, v7
	v_add_nc_u32_e32 v7, 0xfffffc10, v7
	v_cndmask_b32_e64 v4, 0, 1, vcc_lo
	s_delay_alu instid0(VALU_DEP_1) | instskip(NEXT) | instid1(VALU_DEP_4)
	v_and_or_b32 v4, 0xffe, v5, v4
	v_med3_i32 v5, v10, 0, 13
	s_delay_alu instid0(VALU_DEP_2) | instskip(NEXT) | instid1(VALU_DEP_1)
	v_or_b32_e32 v10, 0x1000, v4
	v_lshrrev_b32_e32 v11, v5, v10
	s_delay_alu instid0(VALU_DEP_1) | instskip(NEXT) | instid1(VALU_DEP_1)
	v_lshlrev_b32_e32 v5, v5, v11
	v_cmp_ne_u32_e32 vcc_lo, v5, v10
	v_lshl_or_b32 v10, v7, 12, v4
	v_cndmask_b32_e64 v5, 0, 1, vcc_lo
	v_cmp_gt_i32_e32 vcc_lo, 1, v7
	s_delay_alu instid0(VALU_DEP_2) | instskip(NEXT) | instid1(VALU_DEP_1)
	v_or_b32_e32 v5, v11, v5
	v_cndmask_b32_e32 v5, v10, v5, vcc_lo
	s_delay_alu instid0(VALU_DEP_1) | instskip(NEXT) | instid1(VALU_DEP_1)
	v_dual_lshrrev_b32 v5, 2, v5 :: v_dual_bitop2_b32 v10, 7, v5 bitop3:0x40
	v_cmp_lt_i32_e32 vcc_lo, 5, v10
	v_cndmask_b32_e64 v11, 0, 1, vcc_lo
	v_cmp_eq_u32_e32 vcc_lo, 3, v10
	v_cndmask_b32_e64 v10, 0, 1, vcc_lo
	v_cmp_ne_u32_e32 vcc_lo, 0, v4
	s_delay_alu instid0(VALU_DEP_2) | instskip(SKIP_1) | instid1(VALU_DEP_1)
	v_or_b32_e32 v10, v10, v11
	v_mov_b32_e32 v11, 0x7e00
	v_dual_cndmask_b32 v4, 0x7c00, v11 :: v_dual_add_nc_u32 v5, v5, v10
	v_cmp_gt_i32_e32 vcc_lo, 31, v7
	s_delay_alu instid0(VALU_DEP_2) | instskip(SKIP_1) | instid1(VALU_DEP_2)
	v_cndmask_b32_e32 v5, 0x7c00, v5, vcc_lo
	v_cmp_eq_u32_e32 vcc_lo, 0x40f, v7
	v_dual_cndmask_b32 v4, v5, v4 :: v_dual_lshrrev_b32 v5, 16, v3
	s_delay_alu instid0(VALU_DEP_1)
	v_and_or_b32 v4, 0x8000, v5, v4
	global_store_b16 v[8:9], v4, off
.LBB6_1947:
	s_mov_b32 s3, 0
.LBB6_1948:
	s_delay_alu instid0(SALU_CYCLE_1)
	s_and_not1_b32 vcc_lo, exec_lo, s3
	s_cbranch_vccnz .LBB6_1964
; %bb.1949:
	s_cmp_lt_i32 s0, 2
	s_mov_b32 s3, -1
	s_cbranch_scc1 .LBB6_1959
; %bb.1950:
	s_cmp_lt_i32 s0, 3
	s_cbranch_scc1 .LBB6_1956
; %bb.1951:
	s_cmp_gt_i32 s0, 3
	s_cbranch_scc0 .LBB6_1953
; %bb.1952:
	s_wait_xcnt 0x0
	v_trunc_f64_e32 v[4:5], v[2:3]
	s_mov_b32 s3, 0
	s_delay_alu instid0(VALU_DEP_1) | instskip(NEXT) | instid1(VALU_DEP_1)
	v_ldexp_f64 v[10:11], v[4:5], 0xffffffe0
	v_floor_f64_e32 v[10:11], v[10:11]
	s_delay_alu instid0(VALU_DEP_1) | instskip(SKIP_1) | instid1(VALU_DEP_2)
	v_fmamk_f64 v[4:5], v[10:11], 0xc1f00000, v[4:5]
	v_cvt_i32_f64_e32 v11, v[10:11]
	v_cvt_u32_f64_e32 v10, v[4:5]
	global_store_b64 v[8:9], v[10:11], off
.LBB6_1953:
	s_and_not1_b32 vcc_lo, exec_lo, s3
	s_cbranch_vccnz .LBB6_1955
; %bb.1954:
	s_wait_xcnt 0x0
	v_cvt_i32_f64_e32 v4, v[2:3]
	global_store_b32 v[8:9], v4, off
.LBB6_1955:
	s_mov_b32 s3, 0
.LBB6_1956:
	s_delay_alu instid0(SALU_CYCLE_1)
	s_and_not1_b32 vcc_lo, exec_lo, s3
	s_cbranch_vccnz .LBB6_1958
; %bb.1957:
	s_wait_xcnt 0x0
	v_cvt_i32_f64_e32 v4, v[2:3]
	global_store_b16 v[8:9], v4, off
.LBB6_1958:
	s_mov_b32 s3, 0
.LBB6_1959:
	s_delay_alu instid0(SALU_CYCLE_1)
	s_and_not1_b32 vcc_lo, exec_lo, s3
	s_cbranch_vccnz .LBB6_1964
; %bb.1960:
	s_cmp_gt_i32 s0, 0
	s_mov_b32 s0, -1
	s_cbranch_scc0 .LBB6_1962
; %bb.1961:
	s_wait_xcnt 0x0
	v_cvt_i32_f64_e32 v4, v[2:3]
	s_mov_b32 s0, 0
	global_store_b8 v[8:9], v4, off
.LBB6_1962:
	s_and_not1_b32 vcc_lo, exec_lo, s0
	s_cbranch_vccnz .LBB6_1964
; %bb.1963:
	s_wait_xcnt 0x0
	v_trunc_f64_e32 v[2:3], v[2:3]
	s_delay_alu instid0(VALU_DEP_1) | instskip(NEXT) | instid1(VALU_DEP_1)
	v_ldexp_f64 v[4:5], v[2:3], 0xffffffe0
	v_floor_f64_e32 v[4:5], v[4:5]
	s_delay_alu instid0(VALU_DEP_1) | instskip(NEXT) | instid1(VALU_DEP_1)
	v_fmamk_f64 v[2:3], v[4:5], 0xc1f00000, v[2:3]
	v_cvt_u32_f64_e32 v2, v[2:3]
	global_store_b8 v[8:9], v2, off
.LBB6_1964:
	s_mov_b32 s7, -1
.LBB6_1965:
	s_delay_alu instid0(SALU_CYCLE_1)
	s_and_not1_b32 vcc_lo, exec_lo, s7
	s_cbranch_vccnz .LBB6_2042
; %bb.1966:
	s_wait_xcnt 0x0
	v_add_nc_u32_e32 v2, s2, v6
	s_cmp_lt_i32 s14, 11
	s_delay_alu instid0(VALU_DEP_1) | instskip(NEXT) | instid1(VALU_DEP_1)
	v_ashrrev_i32_e32 v3, 31, v2
	v_add_nc_u64_e32 v[4:5], s[4:5], v[2:3]
	s_cbranch_scc1 .LBB6_2043
; %bb.1967:
	s_and_b32 s2, 0xffff, s14
	s_mov_b32 s4, -1
	s_mov_b32 s3, 0
	s_cmp_gt_i32 s2, 25
	s_mov_b32 s0, 0
	s_cbranch_scc0 .LBB6_2000
; %bb.1968:
	s_cmp_gt_i32 s2, 28
	s_cbranch_scc0 .LBB6_1984
; %bb.1969:
	s_cmp_gt_i32 s2, 43
	;; [unrolled: 3-line block ×3, first 2 shown]
	s_cbranch_scc0 .LBB6_1974
; %bb.1971:
	s_cmp_eq_u32 s2, 46
	s_mov_b32 s0, -1
	s_cbranch_scc0 .LBB6_1973
; %bb.1972:
	v_cvt_f32_f64_e32 v2, v[0:1]
	s_mov_b32 s0, 0
	s_delay_alu instid0(VALU_DEP_1) | instskip(SKIP_1) | instid1(VALU_DEP_2)
	v_bfe_u32 v3, v2, 16, 1
	v_cmp_o_f32_e32 vcc_lo, v2, v2
	v_add3_u32 v3, v2, v3, 0x7fff
	s_delay_alu instid0(VALU_DEP_1) | instskip(NEXT) | instid1(VALU_DEP_1)
	v_lshrrev_b32_e32 v3, 16, v3
	v_cndmask_b32_e32 v2, 0x7fc0, v3, vcc_lo
	global_store_b32 v[4:5], v2, off
.LBB6_1973:
	s_mov_b32 s4, 0
.LBB6_1974:
	s_delay_alu instid0(SALU_CYCLE_1)
	s_and_b32 vcc_lo, exec_lo, s4
	s_cbranch_vccz .LBB6_1979
; %bb.1975:
	s_cmp_eq_u32 s2, 44
	s_mov_b32 s0, -1
	s_cbranch_scc0 .LBB6_1979
; %bb.1976:
	s_wait_xcnt 0x0
	v_cvt_f32_f64_e32 v2, v[0:1]
	v_mov_b32_e32 v3, 0xff
	s_mov_b32 s4, exec_lo
	s_delay_alu instid0(VALU_DEP_2) | instskip(NEXT) | instid1(VALU_DEP_1)
	v_bfe_u32 v6, v2, 23, 8
	v_cmpx_ne_u32_e32 0xff, v6
	s_cbranch_execz .LBB6_1978
; %bb.1977:
	v_and_b32_e32 v3, 0x400000, v2
	v_and_or_b32 v6, 0x3fffff, v2, v6
	v_lshrrev_b32_e32 v2, 23, v2
	s_delay_alu instid0(VALU_DEP_3) | instskip(NEXT) | instid1(VALU_DEP_3)
	v_cmp_ne_u32_e32 vcc_lo, 0, v3
	v_cmp_ne_u32_e64 s0, 0, v6
	s_and_b32 s0, vcc_lo, s0
	s_delay_alu instid0(SALU_CYCLE_1) | instskip(NEXT) | instid1(VALU_DEP_1)
	v_cndmask_b32_e64 v3, 0, 1, s0
	v_add_nc_u32_e32 v3, v2, v3
.LBB6_1978:
	s_or_b32 exec_lo, exec_lo, s4
	s_mov_b32 s0, 0
	global_store_b8 v[4:5], v3, off
.LBB6_1979:
	s_mov_b32 s4, 0
.LBB6_1980:
	s_delay_alu instid0(SALU_CYCLE_1)
	s_and_b32 vcc_lo, exec_lo, s4
	s_cbranch_vccz .LBB6_1983
; %bb.1981:
	s_cmp_eq_u32 s2, 29
	s_mov_b32 s0, -1
	s_cbranch_scc0 .LBB6_1983
; %bb.1982:
	s_wait_xcnt 0x0
	v_trunc_f64_e32 v[2:3], v[0:1]
	s_mov_b32 s0, 0
	s_delay_alu instid0(VALU_DEP_1) | instskip(NEXT) | instid1(VALU_DEP_1)
	v_ldexp_f64 v[6:7], v[2:3], 0xffffffe0
	v_floor_f64_e32 v[6:7], v[6:7]
	s_delay_alu instid0(VALU_DEP_1) | instskip(SKIP_1) | instid1(VALU_DEP_2)
	v_fmamk_f64 v[2:3], v[6:7], 0xc1f00000, v[2:3]
	v_cvt_u32_f64_e32 v7, v[6:7]
	v_cvt_u32_f64_e32 v6, v[2:3]
	global_store_b64 v[4:5], v[6:7], off
.LBB6_1983:
	s_mov_b32 s4, 0
.LBB6_1984:
	s_delay_alu instid0(SALU_CYCLE_1)
	s_and_b32 vcc_lo, exec_lo, s4
	s_cbranch_vccz .LBB6_1999
; %bb.1985:
	s_cmp_lt_i32 s2, 27
	s_mov_b32 s4, -1
	s_cbranch_scc1 .LBB6_1991
; %bb.1986:
	s_wait_xcnt 0x0
	v_cvt_u32_f64_e32 v2, v[0:1]
	s_cmp_gt_i32 s2, 27
	s_cbranch_scc0 .LBB6_1988
; %bb.1987:
	s_mov_b32 s4, 0
	global_store_b32 v[4:5], v2, off
.LBB6_1988:
	s_and_not1_b32 vcc_lo, exec_lo, s4
	s_cbranch_vccnz .LBB6_1990
; %bb.1989:
	global_store_b16 v[4:5], v2, off
.LBB6_1990:
	s_mov_b32 s4, 0
.LBB6_1991:
	s_delay_alu instid0(SALU_CYCLE_1)
	s_and_not1_b32 vcc_lo, exec_lo, s4
	s_cbranch_vccnz .LBB6_1999
; %bb.1992:
	s_wait_xcnt 0x0
	v_cvt_f32_f64_e32 v2, v[0:1]
	v_mov_b32_e32 v6, 0x80
	s_mov_b32 s4, exec_lo
	s_delay_alu instid0(VALU_DEP_2) | instskip(NEXT) | instid1(VALU_DEP_1)
	v_and_b32_e32 v3, 0x7fffffff, v2
	v_cmpx_gt_u32_e32 0x43800000, v3
	s_cbranch_execz .LBB6_1998
; %bb.1993:
	v_cmp_lt_u32_e32 vcc_lo, 0x3bffffff, v3
	s_mov_b32 s5, 0
                                        ; implicit-def: $vgpr3
	s_and_saveexec_b32 s6, vcc_lo
	s_delay_alu instid0(SALU_CYCLE_1)
	s_xor_b32 s6, exec_lo, s6
	s_cbranch_execz .LBB6_2060
; %bb.1994:
	v_bfe_u32 v3, v2, 20, 1
	s_mov_b32 s5, exec_lo
	s_delay_alu instid0(VALU_DEP_1) | instskip(NEXT) | instid1(VALU_DEP_1)
	v_add3_u32 v3, v2, v3, 0x487ffff
	v_lshrrev_b32_e32 v3, 20, v3
	s_and_not1_saveexec_b32 s6, s6
	s_cbranch_execnz .LBB6_2061
.LBB6_1995:
	s_or_b32 exec_lo, exec_lo, s6
	v_mov_b32_e32 v6, 0
	s_and_saveexec_b32 s6, s5
.LBB6_1996:
	v_lshrrev_b32_e32 v2, 24, v2
	s_delay_alu instid0(VALU_DEP_1)
	v_and_or_b32 v6, 0x80, v2, v3
.LBB6_1997:
	s_or_b32 exec_lo, exec_lo, s6
.LBB6_1998:
	s_delay_alu instid0(SALU_CYCLE_1)
	s_or_b32 exec_lo, exec_lo, s4
	global_store_b8 v[4:5], v6, off
.LBB6_1999:
	s_mov_b32 s4, 0
.LBB6_2000:
	s_delay_alu instid0(SALU_CYCLE_1)
	s_and_b32 vcc_lo, exec_lo, s4
	s_cbranch_vccz .LBB6_2040
; %bb.2001:
	s_cmp_gt_i32 s2, 22
	s_mov_b32 s3, -1
	s_cbranch_scc0 .LBB6_2033
; %bb.2002:
	s_cmp_lt_i32 s2, 24
	s_cbranch_scc1 .LBB6_2022
; %bb.2003:
	s_cmp_gt_i32 s2, 24
	s_cbranch_scc0 .LBB6_2011
; %bb.2004:
	s_wait_xcnt 0x0
	v_cvt_f32_f64_e32 v2, v[0:1]
	v_mov_b32_e32 v6, 0x80
	s_mov_b32 s3, exec_lo
	s_delay_alu instid0(VALU_DEP_2) | instskip(NEXT) | instid1(VALU_DEP_1)
	v_and_b32_e32 v3, 0x7fffffff, v2
	v_cmpx_gt_u32_e32 0x47800000, v3
	s_cbranch_execz .LBB6_2010
; %bb.2005:
	v_cmp_lt_u32_e32 vcc_lo, 0x37ffffff, v3
	s_mov_b32 s4, 0
                                        ; implicit-def: $vgpr3
	s_and_saveexec_b32 s5, vcc_lo
	s_delay_alu instid0(SALU_CYCLE_1)
	s_xor_b32 s5, exec_lo, s5
	s_cbranch_execz .LBB6_2063
; %bb.2006:
	v_bfe_u32 v3, v2, 21, 1
	s_mov_b32 s4, exec_lo
	s_delay_alu instid0(VALU_DEP_1) | instskip(NEXT) | instid1(VALU_DEP_1)
	v_add3_u32 v3, v2, v3, 0x88fffff
	v_lshrrev_b32_e32 v3, 21, v3
	s_and_not1_saveexec_b32 s5, s5
	s_cbranch_execnz .LBB6_2064
.LBB6_2007:
	s_or_b32 exec_lo, exec_lo, s5
	v_mov_b32_e32 v6, 0
	s_and_saveexec_b32 s5, s4
.LBB6_2008:
	v_lshrrev_b32_e32 v2, 24, v2
	s_delay_alu instid0(VALU_DEP_1)
	v_and_or_b32 v6, 0x80, v2, v3
.LBB6_2009:
	s_or_b32 exec_lo, exec_lo, s5
.LBB6_2010:
	s_delay_alu instid0(SALU_CYCLE_1)
	s_or_b32 exec_lo, exec_lo, s3
	s_mov_b32 s3, 0
	global_store_b8 v[4:5], v6, off
.LBB6_2011:
	s_and_b32 vcc_lo, exec_lo, s3
	s_cbranch_vccz .LBB6_2021
; %bb.2012:
	s_wait_xcnt 0x0
	v_cvt_f32_f64_e32 v2, v[0:1]
	s_mov_b32 s3, exec_lo
                                        ; implicit-def: $vgpr3
	s_delay_alu instid0(VALU_DEP_1) | instskip(NEXT) | instid1(VALU_DEP_1)
	v_and_b32_e32 v6, 0x7fffffff, v2
	v_cmpx_gt_u32_e32 0x43f00000, v6
	s_xor_b32 s3, exec_lo, s3
	s_cbranch_execz .LBB6_2018
; %bb.2013:
	s_mov_b32 s4, exec_lo
                                        ; implicit-def: $vgpr3
	v_cmpx_lt_u32_e32 0x3c7fffff, v6
	s_xor_b32 s4, exec_lo, s4
; %bb.2014:
	v_bfe_u32 v3, v2, 20, 1
	s_delay_alu instid0(VALU_DEP_1) | instskip(NEXT) | instid1(VALU_DEP_1)
	v_add3_u32 v3, v2, v3, 0x407ffff
	v_and_b32_e32 v6, 0xff00000, v3
	v_lshrrev_b32_e32 v3, 20, v3
	s_delay_alu instid0(VALU_DEP_2) | instskip(NEXT) | instid1(VALU_DEP_2)
	v_cmp_ne_u32_e32 vcc_lo, 0x7f00000, v6
	v_cndmask_b32_e32 v3, 0x7e, v3, vcc_lo
; %bb.2015:
	s_and_not1_saveexec_b32 s4, s4
; %bb.2016:
	v_add_f32_e64 v3, 0x46800000, |v2|
; %bb.2017:
	s_or_b32 exec_lo, exec_lo, s4
                                        ; implicit-def: $vgpr6
.LBB6_2018:
	s_and_not1_saveexec_b32 s3, s3
; %bb.2019:
	v_mov_b32_e32 v3, 0x7f
	v_cmp_lt_u32_e32 vcc_lo, 0x7f800000, v6
	s_delay_alu instid0(VALU_DEP_2)
	v_cndmask_b32_e32 v3, 0x7e, v3, vcc_lo
; %bb.2020:
	s_or_b32 exec_lo, exec_lo, s3
	v_lshrrev_b32_e32 v2, 24, v2
	s_delay_alu instid0(VALU_DEP_1)
	v_and_or_b32 v2, 0x80, v2, v3
	global_store_b8 v[4:5], v2, off
.LBB6_2021:
	s_mov_b32 s3, 0
.LBB6_2022:
	s_delay_alu instid0(SALU_CYCLE_1)
	s_and_not1_b32 vcc_lo, exec_lo, s3
	s_cbranch_vccnz .LBB6_2032
; %bb.2023:
	s_wait_xcnt 0x0
	v_cvt_f32_f64_e32 v2, v[0:1]
	s_mov_b32 s3, exec_lo
                                        ; implicit-def: $vgpr3
	s_delay_alu instid0(VALU_DEP_1) | instskip(NEXT) | instid1(VALU_DEP_1)
	v_and_b32_e32 v6, 0x7fffffff, v2
	v_cmpx_gt_u32_e32 0x47800000, v6
	s_xor_b32 s3, exec_lo, s3
	s_cbranch_execz .LBB6_2029
; %bb.2024:
	s_mov_b32 s4, exec_lo
                                        ; implicit-def: $vgpr3
	v_cmpx_lt_u32_e32 0x387fffff, v6
	s_xor_b32 s4, exec_lo, s4
; %bb.2025:
	v_bfe_u32 v3, v2, 21, 1
	s_delay_alu instid0(VALU_DEP_1) | instskip(NEXT) | instid1(VALU_DEP_1)
	v_add3_u32 v3, v2, v3, 0x80fffff
	v_lshrrev_b32_e32 v3, 21, v3
; %bb.2026:
	s_and_not1_saveexec_b32 s4, s4
; %bb.2027:
	v_add_f32_e64 v3, 0x43000000, |v2|
; %bb.2028:
	s_or_b32 exec_lo, exec_lo, s4
                                        ; implicit-def: $vgpr6
.LBB6_2029:
	s_and_not1_saveexec_b32 s3, s3
; %bb.2030:
	v_mov_b32_e32 v3, 0x7f
	v_cmp_lt_u32_e32 vcc_lo, 0x7f800000, v6
	s_delay_alu instid0(VALU_DEP_2)
	v_cndmask_b32_e32 v3, 0x7c, v3, vcc_lo
; %bb.2031:
	s_or_b32 exec_lo, exec_lo, s3
	v_lshrrev_b32_e32 v2, 24, v2
	s_delay_alu instid0(VALU_DEP_1)
	v_and_or_b32 v2, 0x80, v2, v3
	global_store_b8 v[4:5], v2, off
.LBB6_2032:
	s_mov_b32 s3, 0
.LBB6_2033:
	s_delay_alu instid0(SALU_CYCLE_1)
	s_and_not1_b32 vcc_lo, exec_lo, s3
	s_mov_b32 s3, 0
	s_cbranch_vccnz .LBB6_2040
; %bb.2034:
	s_cmp_gt_i32 s2, 14
	s_mov_b32 s3, -1
	s_cbranch_scc0 .LBB6_2038
; %bb.2035:
	s_cmp_eq_u32 s2, 15
	s_mov_b32 s0, -1
	s_cbranch_scc0 .LBB6_2037
; %bb.2036:
	s_wait_xcnt 0x0
	v_cvt_f32_f64_e32 v2, v[0:1]
	s_mov_b32 s0, 0
	s_delay_alu instid0(VALU_DEP_1) | instskip(SKIP_1) | instid1(VALU_DEP_2)
	v_bfe_u32 v3, v2, 16, 1
	v_cmp_o_f32_e32 vcc_lo, v2, v2
	v_add3_u32 v3, v2, v3, 0x7fff
	s_delay_alu instid0(VALU_DEP_1) | instskip(NEXT) | instid1(VALU_DEP_1)
	v_lshrrev_b32_e32 v3, 16, v3
	v_cndmask_b32_e32 v2, 0x7fc0, v3, vcc_lo
	global_store_b16 v[4:5], v2, off
.LBB6_2037:
	s_mov_b32 s3, 0
.LBB6_2038:
	s_delay_alu instid0(SALU_CYCLE_1)
	s_and_b32 vcc_lo, exec_lo, s3
	s_mov_b32 s3, 0
	s_cbranch_vccz .LBB6_2040
; %bb.2039:
	s_cmp_lg_u32 s2, 11
	s_mov_b32 s3, -1
	s_cselect_b32 s0, -1, 0
.LBB6_2040:
	s_delay_alu instid0(SALU_CYCLE_1)
	s_and_b32 vcc_lo, exec_lo, s0
	s_cbranch_vccnz .LBB6_2062
.LBB6_2041:
	s_mov_b32 s0, 0
	s_branch .LBB6_1643
.LBB6_2042:
	s_mov_b32 s0, 0
	s_mov_b32 s3, 0
                                        ; implicit-def: $sgpr14
                                        ; implicit-def: $vgpr4_vgpr5
	s_branch .LBB6_1643
.LBB6_2043:
	s_mov_b32 s3, 0
	s_mov_b32 s0, -1
	s_branch .LBB6_1643
.LBB6_2044:
	s_or_b32 s1, s1, exec_lo
	s_trap 2
	s_cbranch_execz .LBB6_1510
	s_branch .LBB6_1511
.LBB6_2045:
	s_and_not1_saveexec_b32 s9, s9
	s_cbranch_execz .LBB6_1592
.LBB6_2046:
	v_add_f32_e64 v9, 0x46000000, |v8|
	s_and_not1_b32 s7, s7, exec_lo
	s_delay_alu instid0(VALU_DEP_1) | instskip(NEXT) | instid1(VALU_DEP_1)
	v_and_b32_e32 v9, 0xff, v9
	v_cmp_ne_u32_e32 vcc_lo, 0, v9
	s_and_b32 s10, vcc_lo, exec_lo
	s_delay_alu instid0(SALU_CYCLE_1)
	s_or_b32 s7, s7, s10
	s_or_b32 exec_lo, exec_lo, s9
	v_mov_b32_e32 v11, 0
	s_and_saveexec_b32 s9, s7
	s_cbranch_execnz .LBB6_1593
	s_branch .LBB6_1594
.LBB6_2047:
	s_or_b32 s1, s1, exec_lo
	s_trap 2
	s_cbranch_execz .LBB6_1640
	s_branch .LBB6_1641
.LBB6_2048:
	s_and_not1_saveexec_b32 s7, s7
	s_cbranch_execz .LBB6_1605
.LBB6_2049:
	v_add_f32_e64 v9, 0x42800000, |v8|
	s_and_not1_b32 s6, s6, exec_lo
	s_delay_alu instid0(VALU_DEP_1) | instskip(NEXT) | instid1(VALU_DEP_1)
	v_and_b32_e32 v9, 0xff, v9
	v_cmp_ne_u32_e32 vcc_lo, 0, v9
	s_and_b32 s9, vcc_lo, exec_lo
	s_delay_alu instid0(SALU_CYCLE_1)
	s_or_b32 s6, s6, s9
	s_or_b32 exec_lo, exec_lo, s7
	v_mov_b32_e32 v11, 0
	s_and_saveexec_b32 s7, s6
	s_cbranch_execnz .LBB6_1606
	s_branch .LBB6_1607
.LBB6_2050:
	s_and_not1_saveexec_b32 s9, s9
	s_cbranch_execz .LBB6_1756
.LBB6_2051:
	v_add_f32_e64 v7, 0x46000000, |v6|
	s_and_not1_b32 s8, s8, exec_lo
	s_delay_alu instid0(VALU_DEP_1) | instskip(NEXT) | instid1(VALU_DEP_1)
	v_and_b32_e32 v7, 0xff, v7
	v_cmp_ne_u32_e32 vcc_lo, 0, v7
	s_and_b32 s10, vcc_lo, exec_lo
	s_delay_alu instid0(SALU_CYCLE_1)
	s_or_b32 s8, s8, s10
	s_or_b32 exec_lo, exec_lo, s9
	v_mov_b32_e32 v9, 0
	s_and_saveexec_b32 s9, s8
	s_cbranch_execnz .LBB6_1757
	s_branch .LBB6_1758
.LBB6_2052:
	s_or_b32 s1, s1, exec_lo
	s_trap 2
	s_cbranch_execz .LBB6_1804
	s_branch .LBB6_1805
.LBB6_2053:
	s_and_not1_saveexec_b32 s8, s8
	s_cbranch_execz .LBB6_1769
.LBB6_2054:
	v_add_f32_e64 v7, 0x42800000, |v6|
	s_and_not1_b32 s7, s7, exec_lo
	s_delay_alu instid0(VALU_DEP_1) | instskip(NEXT) | instid1(VALU_DEP_1)
	v_and_b32_e32 v7, 0xff, v7
	v_cmp_ne_u32_e32 vcc_lo, 0, v7
	s_and_b32 s9, vcc_lo, exec_lo
	s_delay_alu instid0(SALU_CYCLE_1)
	s_or_b32 s7, s7, s9
	s_or_b32 exec_lo, exec_lo, s8
	v_mov_b32_e32 v9, 0
	s_and_saveexec_b32 s8, s7
	s_cbranch_execnz .LBB6_1770
	s_branch .LBB6_1771
.LBB6_2055:
	s_and_not1_saveexec_b32 s9, s9
	s_cbranch_execz .LBB6_1875
.LBB6_2056:
	v_add_f32_e64 v5, 0x46000000, |v4|
	s_and_not1_b32 s8, s8, exec_lo
	s_delay_alu instid0(VALU_DEP_1) | instskip(NEXT) | instid1(VALU_DEP_1)
	v_and_b32_e32 v5, 0xff, v5
	v_cmp_ne_u32_e32 vcc_lo, 0, v5
	s_and_b32 s10, vcc_lo, exec_lo
	s_delay_alu instid0(SALU_CYCLE_1)
	s_or_b32 s8, s8, s10
	s_or_b32 exec_lo, exec_lo, s9
	v_mov_b32_e32 v7, 0
	s_and_saveexec_b32 s9, s8
	s_cbranch_execnz .LBB6_1876
	s_branch .LBB6_1877
.LBB6_2057:
	s_or_b32 s1, s1, exec_lo
	s_trap 2
	s_cbranch_execz .LBB6_1923
	s_branch .LBB6_1924
.LBB6_2058:
	s_and_not1_saveexec_b32 s8, s8
	s_cbranch_execz .LBB6_1888
.LBB6_2059:
	v_add_f32_e64 v5, 0x42800000, |v4|
	s_and_not1_b32 s7, s7, exec_lo
	s_delay_alu instid0(VALU_DEP_1) | instskip(NEXT) | instid1(VALU_DEP_1)
	v_and_b32_e32 v5, 0xff, v5
	v_cmp_ne_u32_e32 vcc_lo, 0, v5
	s_and_b32 s9, vcc_lo, exec_lo
	s_delay_alu instid0(SALU_CYCLE_1)
	s_or_b32 s7, s7, s9
	s_or_b32 exec_lo, exec_lo, s8
	v_mov_b32_e32 v7, 0
	s_and_saveexec_b32 s8, s7
	s_cbranch_execnz .LBB6_1889
	s_branch .LBB6_1890
.LBB6_2060:
	s_and_not1_saveexec_b32 s6, s6
	s_cbranch_execz .LBB6_1995
.LBB6_2061:
	v_add_f32_e64 v3, 0x46000000, |v2|
	s_and_not1_b32 s5, s5, exec_lo
	s_delay_alu instid0(VALU_DEP_1) | instskip(NEXT) | instid1(VALU_DEP_1)
	v_and_b32_e32 v3, 0xff, v3
	v_cmp_ne_u32_e32 vcc_lo, 0, v3
	s_and_b32 s7, vcc_lo, exec_lo
	s_delay_alu instid0(SALU_CYCLE_1)
	s_or_b32 s5, s5, s7
	s_or_b32 exec_lo, exec_lo, s6
	v_mov_b32_e32 v6, 0
	s_and_saveexec_b32 s6, s5
	s_cbranch_execnz .LBB6_1996
	s_branch .LBB6_1997
.LBB6_2062:
	s_mov_b32 s3, 0
	s_or_b32 s1, s1, exec_lo
	s_trap 2
	s_branch .LBB6_2041
.LBB6_2063:
	s_and_not1_saveexec_b32 s5, s5
	s_cbranch_execz .LBB6_2007
.LBB6_2064:
	v_add_f32_e64 v3, 0x42800000, |v2|
	s_and_not1_b32 s4, s4, exec_lo
	s_delay_alu instid0(VALU_DEP_1) | instskip(NEXT) | instid1(VALU_DEP_1)
	v_and_b32_e32 v3, 0xff, v3
	v_cmp_ne_u32_e32 vcc_lo, 0, v3
	s_and_b32 s6, vcc_lo, exec_lo
	s_delay_alu instid0(SALU_CYCLE_1)
	s_or_b32 s4, s4, s6
	s_or_b32 exec_lo, exec_lo, s5
	v_mov_b32_e32 v6, 0
	s_and_saveexec_b32 s5, s4
	s_cbranch_execnz .LBB6_2008
	s_branch .LBB6_2009
	.section	.rodata,"a",@progbits
	.p2align	6, 0x0
	.amdhsa_kernel _ZN2at6native32elementwise_kernel_manual_unrollILi128ELi4EZNS0_15gpu_kernel_implIZZZNS0_12_GLOBAL__N_124renorm_scale_factor_implERNS_18TensorIteratorBaseEdENKUlvE_clEvENKUlvE_clEvEUldE_EEvS5_RKT_EUlibE_EEviT1_
		.amdhsa_group_segment_fixed_size 0
		.amdhsa_private_segment_fixed_size 0
		.amdhsa_kernarg_size 48
		.amdhsa_user_sgpr_count 2
		.amdhsa_user_sgpr_dispatch_ptr 0
		.amdhsa_user_sgpr_queue_ptr 0
		.amdhsa_user_sgpr_kernarg_segment_ptr 1
		.amdhsa_user_sgpr_dispatch_id 0
		.amdhsa_user_sgpr_kernarg_preload_length 0
		.amdhsa_user_sgpr_kernarg_preload_offset 0
		.amdhsa_user_sgpr_private_segment_size 0
		.amdhsa_wavefront_size32 1
		.amdhsa_uses_dynamic_stack 0
		.amdhsa_enable_private_segment 0
		.amdhsa_system_sgpr_workgroup_id_x 1
		.amdhsa_system_sgpr_workgroup_id_y 0
		.amdhsa_system_sgpr_workgroup_id_z 0
		.amdhsa_system_sgpr_workgroup_info 0
		.amdhsa_system_vgpr_workitem_id 0
		.amdhsa_next_free_vgpr 18
		.amdhsa_next_free_sgpr 28
		.amdhsa_named_barrier_count 0
		.amdhsa_reserve_vcc 1
		.amdhsa_float_round_mode_32 0
		.amdhsa_float_round_mode_16_64 0
		.amdhsa_float_denorm_mode_32 3
		.amdhsa_float_denorm_mode_16_64 3
		.amdhsa_fp16_overflow 0
		.amdhsa_memory_ordered 1
		.amdhsa_forward_progress 1
		.amdhsa_inst_pref_size 255
		.amdhsa_round_robin_scheduling 0
		.amdhsa_exception_fp_ieee_invalid_op 0
		.amdhsa_exception_fp_denorm_src 0
		.amdhsa_exception_fp_ieee_div_zero 0
		.amdhsa_exception_fp_ieee_overflow 0
		.amdhsa_exception_fp_ieee_underflow 0
		.amdhsa_exception_fp_ieee_inexact 0
		.amdhsa_exception_int_div_zero 0
	.end_amdhsa_kernel
	.section	.text._ZN2at6native32elementwise_kernel_manual_unrollILi128ELi4EZNS0_15gpu_kernel_implIZZZNS0_12_GLOBAL__N_124renorm_scale_factor_implERNS_18TensorIteratorBaseEdENKUlvE_clEvENKUlvE_clEvEUldE_EEvS5_RKT_EUlibE_EEviT1_,"axG",@progbits,_ZN2at6native32elementwise_kernel_manual_unrollILi128ELi4EZNS0_15gpu_kernel_implIZZZNS0_12_GLOBAL__N_124renorm_scale_factor_implERNS_18TensorIteratorBaseEdENKUlvE_clEvENKUlvE_clEvEUldE_EEvS5_RKT_EUlibE_EEviT1_,comdat
.Lfunc_end6:
	.size	_ZN2at6native32elementwise_kernel_manual_unrollILi128ELi4EZNS0_15gpu_kernel_implIZZZNS0_12_GLOBAL__N_124renorm_scale_factor_implERNS_18TensorIteratorBaseEdENKUlvE_clEvENKUlvE_clEvEUldE_EEvS5_RKT_EUlibE_EEviT1_, .Lfunc_end6-_ZN2at6native32elementwise_kernel_manual_unrollILi128ELi4EZNS0_15gpu_kernel_implIZZZNS0_12_GLOBAL__N_124renorm_scale_factor_implERNS_18TensorIteratorBaseEdENKUlvE_clEvENKUlvE_clEvEUldE_EEvS5_RKT_EUlibE_EEviT1_
                                        ; -- End function
	.set _ZN2at6native32elementwise_kernel_manual_unrollILi128ELi4EZNS0_15gpu_kernel_implIZZZNS0_12_GLOBAL__N_124renorm_scale_factor_implERNS_18TensorIteratorBaseEdENKUlvE_clEvENKUlvE_clEvEUldE_EEvS5_RKT_EUlibE_EEviT1_.num_vgpr, 18
	.set _ZN2at6native32elementwise_kernel_manual_unrollILi128ELi4EZNS0_15gpu_kernel_implIZZZNS0_12_GLOBAL__N_124renorm_scale_factor_implERNS_18TensorIteratorBaseEdENKUlvE_clEvENKUlvE_clEvEUldE_EEvS5_RKT_EUlibE_EEviT1_.num_agpr, 0
	.set _ZN2at6native32elementwise_kernel_manual_unrollILi128ELi4EZNS0_15gpu_kernel_implIZZZNS0_12_GLOBAL__N_124renorm_scale_factor_implERNS_18TensorIteratorBaseEdENKUlvE_clEvENKUlvE_clEvEUldE_EEvS5_RKT_EUlibE_EEviT1_.numbered_sgpr, 28
	.set _ZN2at6native32elementwise_kernel_manual_unrollILi128ELi4EZNS0_15gpu_kernel_implIZZZNS0_12_GLOBAL__N_124renorm_scale_factor_implERNS_18TensorIteratorBaseEdENKUlvE_clEvENKUlvE_clEvEUldE_EEvS5_RKT_EUlibE_EEviT1_.num_named_barrier, 0
	.set _ZN2at6native32elementwise_kernel_manual_unrollILi128ELi4EZNS0_15gpu_kernel_implIZZZNS0_12_GLOBAL__N_124renorm_scale_factor_implERNS_18TensorIteratorBaseEdENKUlvE_clEvENKUlvE_clEvEUldE_EEvS5_RKT_EUlibE_EEviT1_.private_seg_size, 0
	.set _ZN2at6native32elementwise_kernel_manual_unrollILi128ELi4EZNS0_15gpu_kernel_implIZZZNS0_12_GLOBAL__N_124renorm_scale_factor_implERNS_18TensorIteratorBaseEdENKUlvE_clEvENKUlvE_clEvEUldE_EEvS5_RKT_EUlibE_EEviT1_.uses_vcc, 1
	.set _ZN2at6native32elementwise_kernel_manual_unrollILi128ELi4EZNS0_15gpu_kernel_implIZZZNS0_12_GLOBAL__N_124renorm_scale_factor_implERNS_18TensorIteratorBaseEdENKUlvE_clEvENKUlvE_clEvEUldE_EEvS5_RKT_EUlibE_EEviT1_.uses_flat_scratch, 0
	.set _ZN2at6native32elementwise_kernel_manual_unrollILi128ELi4EZNS0_15gpu_kernel_implIZZZNS0_12_GLOBAL__N_124renorm_scale_factor_implERNS_18TensorIteratorBaseEdENKUlvE_clEvENKUlvE_clEvEUldE_EEvS5_RKT_EUlibE_EEviT1_.has_dyn_sized_stack, 0
	.set _ZN2at6native32elementwise_kernel_manual_unrollILi128ELi4EZNS0_15gpu_kernel_implIZZZNS0_12_GLOBAL__N_124renorm_scale_factor_implERNS_18TensorIteratorBaseEdENKUlvE_clEvENKUlvE_clEvEUldE_EEvS5_RKT_EUlibE_EEviT1_.has_recursion, 0
	.set _ZN2at6native32elementwise_kernel_manual_unrollILi128ELi4EZNS0_15gpu_kernel_implIZZZNS0_12_GLOBAL__N_124renorm_scale_factor_implERNS_18TensorIteratorBaseEdENKUlvE_clEvENKUlvE_clEvEUldE_EEvS5_RKT_EUlibE_EEviT1_.has_indirect_call, 0
	.section	.AMDGPU.csdata,"",@progbits
; Kernel info:
; codeLenInByte = 42804
; TotalNumSgprs: 30
; NumVgprs: 18
; ScratchSize: 0
; MemoryBound: 1
; FloatMode: 240
; IeeeMode: 1
; LDSByteSize: 0 bytes/workgroup (compile time only)
; SGPRBlocks: 0
; VGPRBlocks: 1
; NumSGPRsForWavesPerEU: 30
; NumVGPRsForWavesPerEU: 18
; NamedBarCnt: 0
; Occupancy: 16
; WaveLimiterHint : 0
; COMPUTE_PGM_RSRC2:SCRATCH_EN: 0
; COMPUTE_PGM_RSRC2:USER_SGPR: 2
; COMPUTE_PGM_RSRC2:TRAP_HANDLER: 0
; COMPUTE_PGM_RSRC2:TGID_X_EN: 1
; COMPUTE_PGM_RSRC2:TGID_Y_EN: 0
; COMPUTE_PGM_RSRC2:TGID_Z_EN: 0
; COMPUTE_PGM_RSRC2:TIDIG_COMP_CNT: 0
	.section	.text._ZN2at6native32elementwise_kernel_manual_unrollILi128ELi4EZNS0_15gpu_kernel_implIZZZNS0_12_GLOBAL__N_124renorm_scale_factor_implERNS_18TensorIteratorBaseEdENKUlvE_clEvENKUlvE_clEvEUldE_EEvS5_RKT_EUlibE0_EEviT1_,"axG",@progbits,_ZN2at6native32elementwise_kernel_manual_unrollILi128ELi4EZNS0_15gpu_kernel_implIZZZNS0_12_GLOBAL__N_124renorm_scale_factor_implERNS_18TensorIteratorBaseEdENKUlvE_clEvENKUlvE_clEvEUldE_EEvS5_RKT_EUlibE0_EEviT1_,comdat
	.globl	_ZN2at6native32elementwise_kernel_manual_unrollILi128ELi4EZNS0_15gpu_kernel_implIZZZNS0_12_GLOBAL__N_124renorm_scale_factor_implERNS_18TensorIteratorBaseEdENKUlvE_clEvENKUlvE_clEvEUldE_EEvS5_RKT_EUlibE0_EEviT1_ ; -- Begin function _ZN2at6native32elementwise_kernel_manual_unrollILi128ELi4EZNS0_15gpu_kernel_implIZZZNS0_12_GLOBAL__N_124renorm_scale_factor_implERNS_18TensorIteratorBaseEdENKUlvE_clEvENKUlvE_clEvEUldE_EEvS5_RKT_EUlibE0_EEviT1_
	.p2align	8
	.type	_ZN2at6native32elementwise_kernel_manual_unrollILi128ELi4EZNS0_15gpu_kernel_implIZZZNS0_12_GLOBAL__N_124renorm_scale_factor_implERNS_18TensorIteratorBaseEdENKUlvE_clEvENKUlvE_clEvEUldE_EEvS5_RKT_EUlibE0_EEviT1_,@function
_ZN2at6native32elementwise_kernel_manual_unrollILi128ELi4EZNS0_15gpu_kernel_implIZZZNS0_12_GLOBAL__N_124renorm_scale_factor_implERNS_18TensorIteratorBaseEdENKUlvE_clEvENKUlvE_clEvEUldE_EEvS5_RKT_EUlibE0_EEviT1_: ; @_ZN2at6native32elementwise_kernel_manual_unrollILi128ELi4EZNS0_15gpu_kernel_implIZZZNS0_12_GLOBAL__N_124renorm_scale_factor_implERNS_18TensorIteratorBaseEdENKUlvE_clEvENKUlvE_clEvEUldE_EEvS5_RKT_EUlibE0_EEviT1_
; %bb.0:
	s_clause 0x1
	s_load_b32 s19, s[0:1], 0x8
	s_load_b32 s38, s[0:1], 0x0
	s_bfe_u32 s2, ttmp6, 0x4000c
	s_and_b32 s3, ttmp6, 15
	s_add_co_i32 s2, s2, 1
	s_getreg_b32 s4, hwreg(HW_REG_IB_STS2, 6, 4)
	s_mul_i32 s2, ttmp9, s2
	s_mov_b32 s34, 0
	s_add_co_i32 s3, s3, s2
	s_cmp_eq_u32 s4, 0
	s_mov_b32 s27, -1
	s_cselect_b32 s2, ttmp9, s3
	s_mov_b32 s8, 0
	v_lshl_or_b32 v4, s2, 9, v0
	s_add_nc_u64 s[2:3], s[0:1], 8
	s_wait_xcnt 0x0
	s_mov_b32 s0, exec_lo
	s_delay_alu instid0(VALU_DEP_1) | instskip(SKIP_2) | instid1(SALU_CYCLE_1)
	v_or_b32_e32 v3, 0x180, v4
	s_wait_kmcnt 0x0
	s_add_co_i32 s33, s19, -1
	s_cmp_gt_u32 s33, 1
	s_cselect_b32 s35, -1, 0
	v_cmpx_le_i32_e64 s38, v3
	s_xor_b32 s36, exec_lo, s0
	s_cbranch_execz .LBB7_1104
; %bb.1:
	s_clause 0x4
	s_load_b128 s[8:11], s[2:3], 0x4
	s_load_b64 s[0:1], s[2:3], 0x14
	s_load_b96 s[16:18], s[2:3], 0x158
	s_load_b128 s[12:15], s[2:3], 0xc4
	s_load_b128 s[4:7], s[2:3], 0x148
	s_cmp_lg_u32 s19, 0
	s_mov_b32 s21, 0
	s_cselect_b32 s40, -1, 0
	s_min_u32 s39, s33, 15
	s_cmp_gt_u32 s19, 1
	s_add_nc_u64 s[24:25], s[2:3], 0xc4
	s_mov_b32 s23, s21
	s_mov_b32 s42, s21
	s_cselect_b32 s37, -1, 0
	s_mov_b32 s41, s21
	s_mov_b32 s43, exec_lo
	s_wait_kmcnt 0x0
	s_mov_b32 s20, s9
	s_mov_b32 s22, s0
	s_bfe_u32 s9, s18, 0x80008
	v_cmpx_gt_i32_e64 s38, v4
	s_cbranch_execz .LBB7_269
; %bb.2:
	s_and_not1_b32 vcc_lo, exec_lo, s35
	s_cbranch_vccnz .LBB7_8
; %bb.3:
	s_and_not1_b32 vcc_lo, exec_lo, s40
	s_cbranch_vccnz .LBB7_9
; %bb.4:
	s_add_co_i32 s0, s39, 1
	s_cmp_eq_u32 s33, 2
	s_cbranch_scc1 .LBB7_10
; %bb.5:
	v_dual_mov_b32 v2, 0 :: v_dual_mov_b32 v0, 0
	v_mov_b32_e32 v1, v4
	s_and_b32 s26, s0, 28
	s_mov_b32 s27, 0
	s_mov_b64 s[28:29], s[2:3]
	s_mov_b64 s[30:31], s[24:25]
.LBB7_6:                                ; =>This Inner Loop Header: Depth=1
	s_clause 0x1
	s_load_b256 s[44:51], s[28:29], 0x4
	s_load_b128 s[60:63], s[28:29], 0x24
	s_load_b256 s[52:59], s[30:31], 0x0
	s_add_co_i32 s27, s27, 4
	s_wait_xcnt 0x0
	s_add_nc_u64 s[28:29], s[28:29], 48
	s_cmp_lg_u32 s26, s27
	s_add_nc_u64 s[30:31], s[30:31], 32
	s_wait_kmcnt 0x0
	v_mul_hi_u32 v3, s45, v1
	s_delay_alu instid0(VALU_DEP_1) | instskip(NEXT) | instid1(VALU_DEP_1)
	v_add_nc_u32_e32 v3, v1, v3
	v_lshrrev_b32_e32 v3, s46, v3
	s_delay_alu instid0(VALU_DEP_1) | instskip(NEXT) | instid1(VALU_DEP_1)
	v_mul_hi_u32 v5, s48, v3
	v_add_nc_u32_e32 v5, v3, v5
	s_delay_alu instid0(VALU_DEP_1) | instskip(NEXT) | instid1(VALU_DEP_1)
	v_lshrrev_b32_e32 v5, s49, v5
	v_mul_hi_u32 v6, s51, v5
	s_delay_alu instid0(VALU_DEP_1) | instskip(SKIP_1) | instid1(VALU_DEP_1)
	v_add_nc_u32_e32 v6, v5, v6
	v_mul_lo_u32 v7, v3, s44
	v_sub_nc_u32_e32 v1, v1, v7
	v_mul_lo_u32 v7, v5, s47
	s_delay_alu instid0(VALU_DEP_4) | instskip(NEXT) | instid1(VALU_DEP_3)
	v_lshrrev_b32_e32 v6, s60, v6
	v_mad_u32 v0, v1, s53, v0
	v_mad_u32 v1, v1, s52, v2
	s_delay_alu instid0(VALU_DEP_4) | instskip(NEXT) | instid1(VALU_DEP_4)
	v_sub_nc_u32_e32 v2, v3, v7
	v_mul_hi_u32 v8, s62, v6
	v_mul_lo_u32 v3, v6, s50
	s_delay_alu instid0(VALU_DEP_3) | instskip(SKIP_1) | instid1(VALU_DEP_3)
	v_mad_u32 v0, v2, s55, v0
	v_mad_u32 v2, v2, s54, v1
	v_dual_add_nc_u32 v7, v6, v8 :: v_dual_sub_nc_u32 v3, v5, v3
	s_delay_alu instid0(VALU_DEP_1) | instskip(NEXT) | instid1(VALU_DEP_2)
	v_lshrrev_b32_e32 v1, s63, v7
	v_mad_u32 v0, v3, s57, v0
	s_delay_alu instid0(VALU_DEP_4) | instskip(NEXT) | instid1(VALU_DEP_3)
	v_mad_u32 v2, v3, s56, v2
	v_mul_lo_u32 v5, v1, s61
	s_delay_alu instid0(VALU_DEP_1) | instskip(NEXT) | instid1(VALU_DEP_1)
	v_sub_nc_u32_e32 v3, v6, v5
	v_mad_u32 v0, v3, s59, v0
	s_delay_alu instid0(VALU_DEP_4)
	v_mad_u32 v2, v3, s58, v2
	s_cbranch_scc1 .LBB7_6
; %bb.7:
	s_delay_alu instid0(VALU_DEP_2)
	v_mov_b32_e32 v3, v0
	s_and_b32 s0, s0, 3
	s_mov_b32 s27, 0
	s_cmp_eq_u32 s0, 0
	s_cbranch_scc0 .LBB7_11
	s_branch .LBB7_14
.LBB7_8:
                                        ; implicit-def: $vgpr0
                                        ; implicit-def: $vgpr2
	s_branch .LBB7_15
.LBB7_9:
	v_dual_mov_b32 v0, 0 :: v_dual_mov_b32 v2, 0
	s_branch .LBB7_14
.LBB7_10:
	v_mov_b64_e32 v[2:3], 0
	v_mov_b32_e32 v1, v4
	s_mov_b32 s26, 0
                                        ; implicit-def: $vgpr0
	s_and_b32 s0, s0, 3
	s_mov_b32 s27, 0
	s_cmp_eq_u32 s0, 0
	s_cbranch_scc1 .LBB7_14
.LBB7_11:
	s_lshl_b32 s28, s26, 3
	s_mov_b32 s29, s27
	s_mul_u64 s[30:31], s[26:27], 12
	s_add_nc_u64 s[28:29], s[2:3], s[28:29]
	s_delay_alu instid0(SALU_CYCLE_1)
	s_add_nc_u64 s[26:27], s[28:29], 0xc4
	s_add_nc_u64 s[28:29], s[2:3], s[30:31]
.LBB7_12:                               ; =>This Inner Loop Header: Depth=1
	s_load_b96 s[44:46], s[28:29], 0x4
	s_load_b64 s[30:31], s[26:27], 0x0
	s_add_co_i32 s0, s0, -1
	s_wait_xcnt 0x0
	s_add_nc_u64 s[28:29], s[28:29], 12
	s_cmp_lg_u32 s0, 0
	s_add_nc_u64 s[26:27], s[26:27], 8
	s_wait_kmcnt 0x0
	v_mul_hi_u32 v0, s45, v1
	s_delay_alu instid0(VALU_DEP_1) | instskip(NEXT) | instid1(VALU_DEP_1)
	v_add_nc_u32_e32 v0, v1, v0
	v_lshrrev_b32_e32 v0, s46, v0
	s_delay_alu instid0(VALU_DEP_1) | instskip(NEXT) | instid1(VALU_DEP_1)
	v_mul_lo_u32 v5, v0, s44
	v_sub_nc_u32_e32 v1, v1, v5
	s_delay_alu instid0(VALU_DEP_1)
	v_mad_u32 v3, v1, s31, v3
	v_mad_u32 v2, v1, s30, v2
	v_mov_b32_e32 v1, v0
	s_cbranch_scc1 .LBB7_12
; %bb.13:
	s_delay_alu instid0(VALU_DEP_3)
	v_mov_b32_e32 v0, v3
.LBB7_14:
	s_cbranch_execnz .LBB7_17
.LBB7_15:
	v_mov_b32_e32 v5, 0
	s_and_not1_b32 vcc_lo, exec_lo, s37
	s_delay_alu instid0(VALU_DEP_1) | instskip(NEXT) | instid1(VALU_DEP_1)
	v_mul_u64_e32 v[0:1], s[20:21], v[4:5]
	v_add_nc_u32_e32 v0, v4, v1
	s_delay_alu instid0(VALU_DEP_1) | instskip(NEXT) | instid1(VALU_DEP_1)
	v_lshrrev_b32_e32 v6, s10, v0
	v_mul_lo_u32 v0, v6, s8
	s_delay_alu instid0(VALU_DEP_1) | instskip(NEXT) | instid1(VALU_DEP_1)
	v_sub_nc_u32_e32 v1, v4, v0
	v_mul_lo_u32 v0, v1, s13
	v_mul_lo_u32 v2, v1, s12
	s_cbranch_vccnz .LBB7_17
; %bb.16:
	v_mov_b32_e32 v7, v5
	s_delay_alu instid0(VALU_DEP_1) | instskip(NEXT) | instid1(VALU_DEP_1)
	v_mul_u64_e32 v[8:9], s[22:23], v[6:7]
	v_add_nc_u32_e32 v1, v6, v9
	s_delay_alu instid0(VALU_DEP_1) | instskip(NEXT) | instid1(VALU_DEP_1)
	v_lshrrev_b32_e32 v1, s1, v1
	v_mul_lo_u32 v1, v1, s11
	s_delay_alu instid0(VALU_DEP_1) | instskip(NEXT) | instid1(VALU_DEP_1)
	v_sub_nc_u32_e32 v1, v6, v1
	v_mad_u32 v2, v1, s14, v2
	v_mad_u32 v0, v1, s15, v0
.LBB7_17:
	v_mov_b32_e32 v1, 0
	s_and_b32 s0, 0xffff, s9
	s_delay_alu instid0(SALU_CYCLE_1) | instskip(NEXT) | instid1(VALU_DEP_1)
	s_cmp_lt_i32 s0, 11
	v_add_nc_u64_e32 v[0:1], s[6:7], v[0:1]
	s_cbranch_scc1 .LBB7_24
; %bb.18:
	s_cmp_gt_i32 s0, 25
	s_cbranch_scc0 .LBB7_35
; %bb.19:
	s_cmp_gt_i32 s0, 28
	s_cbranch_scc0 .LBB7_38
	;; [unrolled: 3-line block ×4, first 2 shown]
; %bb.22:
	s_cmp_eq_u32 s0, 46
	s_mov_b32 s28, 0
	s_cbranch_scc0 .LBB7_44
; %bb.23:
	global_load_b32 v3, v[0:1], off
	s_mov_b32 s27, -1
	s_mov_b32 s26, 0
	s_wait_loadcnt 0x0
	v_lshlrev_b32_e32 v3, 16, v3
	s_delay_alu instid0(VALU_DEP_1)
	v_cvt_f64_f32_e32 v[6:7], v3
	s_branch .LBB7_46
.LBB7_24:
	s_mov_b32 s26, 0
	s_mov_b32 s27, 0
                                        ; implicit-def: $vgpr6_vgpr7
	s_cbranch_execnz .LBB7_219
.LBB7_25:
	s_and_not1_b32 vcc_lo, exec_lo, s27
	s_cbranch_vccnz .LBB7_266
.LBB7_26:
	s_wait_xcnt 0x0
	v_mov_b64_e32 v[0:1], 1.0
	s_mov_b32 s0, exec_lo
	s_wait_loadcnt 0x0
	s_delay_alu instid0(VALU_DEP_2)
	v_cmpx_lt_f64_e32 s[16:17], v[6:7]
	s_cbranch_execz .LBB7_28
; %bb.27:
	v_add_f64_e32 v[0:1], 0x3e7ad7f29abcaf48, v[6:7]
	s_delay_alu instid0(VALU_DEP_1) | instskip(NEXT) | instid1(VALU_DEP_1)
	v_div_scale_f64 v[6:7], null, v[0:1], v[0:1], s[16:17]
	v_rcp_f64_e32 v[8:9], v[6:7]
	v_nop
	s_delay_alu instid0(TRANS32_DEP_1) | instskip(NEXT) | instid1(VALU_DEP_1)
	v_fma_f64 v[10:11], -v[6:7], v[8:9], 1.0
	v_fmac_f64_e32 v[8:9], v[8:9], v[10:11]
	s_delay_alu instid0(VALU_DEP_1) | instskip(NEXT) | instid1(VALU_DEP_1)
	v_fma_f64 v[10:11], -v[6:7], v[8:9], 1.0
	v_fmac_f64_e32 v[8:9], v[8:9], v[10:11]
	v_div_scale_f64 v[10:11], vcc_lo, s[16:17], v[0:1], s[16:17]
	s_delay_alu instid0(VALU_DEP_1) | instskip(NEXT) | instid1(VALU_DEP_1)
	v_mul_f64_e32 v[12:13], v[10:11], v[8:9]
	v_fma_f64 v[6:7], -v[6:7], v[12:13], v[10:11]
	s_delay_alu instid0(VALU_DEP_1) | instskip(NEXT) | instid1(VALU_DEP_1)
	v_div_fmas_f64 v[6:7], v[6:7], v[8:9], v[12:13]
	v_div_fixup_f64 v[0:1], v[6:7], v[0:1], s[16:17]
.LBB7_28:
	s_or_b32 exec_lo, exec_lo, s0
	v_mov_b32_e32 v3, 0
	s_and_b32 s27, s18, 0xff
	s_delay_alu instid0(SALU_CYCLE_1) | instskip(NEXT) | instid1(VALU_DEP_1)
	s_cmp_lt_i32 s27, 11
	v_add_nc_u64_e32 v[6:7], s[4:5], v[2:3]
	s_cbranch_scc1 .LBB7_36
; %bb.29:
	s_and_b32 s28, 0xffff, s27
	s_delay_alu instid0(SALU_CYCLE_1)
	s_cmp_gt_i32 s28, 25
	s_cbranch_scc0 .LBB7_39
; %bb.30:
	s_cmp_gt_i32 s28, 28
	s_cbranch_scc0 .LBB7_41
; %bb.31:
	;; [unrolled: 3-line block ×4, first 2 shown]
	s_mov_b32 s30, 0
	s_mov_b32 s0, -1
	s_cmp_eq_u32 s28, 46
	s_mov_b32 s29, 0
	s_cbranch_scc0 .LBB7_50
; %bb.34:
	s_delay_alu instid0(VALU_DEP_3) | instskip(SKIP_2) | instid1(VALU_DEP_1)
	v_cvt_f32_f64_e32 v2, v[0:1]
	s_mov_b32 s29, -1
	s_mov_b32 s0, 0
	v_bfe_u32 v3, v2, 16, 1
	v_cmp_o_f32_e32 vcc_lo, v2, v2
	s_delay_alu instid0(VALU_DEP_2) | instskip(NEXT) | instid1(VALU_DEP_1)
	v_add3_u32 v3, v2, v3, 0x7fff
	v_lshrrev_b32_e32 v3, 16, v3
	s_delay_alu instid0(VALU_DEP_1)
	v_cndmask_b32_e32 v2, 0x7fc0, v3, vcc_lo
	global_store_b32 v[6:7], v2, off
	s_branch .LBB7_50
.LBB7_35:
	s_mov_b32 s26, 0
	s_mov_b32 s27, 0
                                        ; implicit-def: $vgpr6_vgpr7
	s_cbranch_execnz .LBB7_184
	s_branch .LBB7_218
.LBB7_36:
	s_mov_b32 s0, 0
	s_mov_b32 s29, 0
	s_cbranch_execnz .LBB7_119
.LBB7_37:
	s_and_not1_b32 vcc_lo, exec_lo, s29
	s_cbranch_vccz .LBB7_157
	s_branch .LBB7_267
.LBB7_38:
	s_mov_b32 s28, -1
	s_mov_b32 s26, 0
	s_mov_b32 s27, 0
                                        ; implicit-def: $vgpr6_vgpr7
	s_branch .LBB7_165
.LBB7_39:
	s_mov_b32 s30, -1
	s_mov_b32 s0, 0
	s_mov_b32 s29, 0
	s_branch .LBB7_77
.LBB7_40:
	s_mov_b32 s28, -1
	s_mov_b32 s26, 0
	s_mov_b32 s27, 0
                                        ; implicit-def: $vgpr6_vgpr7
	s_branch .LBB7_160
.LBB7_41:
	s_mov_b32 s30, -1
	s_mov_b32 s0, 0
	s_mov_b32 s29, 0
	s_branch .LBB7_60
.LBB7_42:
	s_mov_b32 s28, -1
	s_mov_b32 s26, 0
	s_branch .LBB7_45
.LBB7_43:
	s_mov_b32 s30, -1
	s_mov_b32 s0, 0
	s_mov_b32 s29, 0
	s_branch .LBB7_56
.LBB7_44:
	s_mov_b32 s26, -1
.LBB7_45:
	s_mov_b32 s27, 0
                                        ; implicit-def: $vgpr6_vgpr7
.LBB7_46:
	s_and_b32 vcc_lo, exec_lo, s28
	s_cbranch_vccz .LBB7_159
; %bb.47:
	s_cmp_eq_u32 s0, 44
	s_cbranch_scc0 .LBB7_158
; %bb.48:
	global_load_u8 v3, v[0:1], off
	s_mov_b32 s26, 0
	s_mov_b32 s27, -1
	s_wait_loadcnt 0x0
	v_lshlrev_b32_e32 v5, 23, v3
	v_cmp_ne_u32_e32 vcc_lo, 0xff, v3
	s_delay_alu instid0(VALU_DEP_2) | instskip(NEXT) | instid1(VALU_DEP_1)
	v_cvt_f64_f32_e32 v[6:7], v5
	v_cndmask_b32_e32 v5, 0x20000000, v6, vcc_lo
	s_delay_alu instid0(VALU_DEP_2) | instskip(SKIP_1) | instid1(VALU_DEP_2)
	v_cndmask_b32_e32 v6, 0x7ff80000, v7, vcc_lo
	v_cmp_ne_u32_e32 vcc_lo, 0, v3
	v_cndmask_b32_e32 v7, 0x38000000, v6, vcc_lo
	s_delay_alu instid0(VALU_DEP_4)
	v_cndmask_b32_e32 v6, 0, v5, vcc_lo
	s_branch .LBB7_159
.LBB7_49:
	s_mov_b32 s30, -1
	s_mov_b32 s0, 0
	s_mov_b32 s29, 0
.LBB7_50:
	s_and_b32 vcc_lo, exec_lo, s30
	s_cbranch_vccz .LBB7_55
; %bb.51:
	s_cmp_eq_u32 s28, 44
	s_mov_b32 s0, -1
	s_cbranch_scc0 .LBB7_55
; %bb.52:
	s_wait_xcnt 0x0
	s_delay_alu instid0(VALU_DEP_3) | instskip(SKIP_2) | instid1(VALU_DEP_2)
	v_cvt_f32_f64_e32 v2, v[0:1]
	v_mov_b32_e32 v3, 0xff
	s_mov_b32 s29, exec_lo
	v_bfe_u32 v5, v2, 23, 8
	s_delay_alu instid0(VALU_DEP_1)
	v_cmpx_ne_u32_e32 0xff, v5
	s_cbranch_execz .LBB7_54
; %bb.53:
	v_and_b32_e32 v3, 0x400000, v2
	v_and_or_b32 v5, 0x3fffff, v2, v5
	v_lshrrev_b32_e32 v2, 23, v2
	s_delay_alu instid0(VALU_DEP_3) | instskip(NEXT) | instid1(VALU_DEP_3)
	v_cmp_ne_u32_e32 vcc_lo, 0, v3
	v_cmp_ne_u32_e64 s0, 0, v5
	s_and_b32 s0, vcc_lo, s0
	s_delay_alu instid0(SALU_CYCLE_1) | instskip(NEXT) | instid1(VALU_DEP_1)
	v_cndmask_b32_e64 v3, 0, 1, s0
	v_add_nc_u32_e32 v3, v2, v3
.LBB7_54:
	s_or_b32 exec_lo, exec_lo, s29
	s_mov_b32 s29, -1
	s_mov_b32 s0, 0
	global_store_b8 v[6:7], v3, off
.LBB7_55:
	s_mov_b32 s30, 0
.LBB7_56:
	s_delay_alu instid0(SALU_CYCLE_1)
	s_and_b32 vcc_lo, exec_lo, s30
	s_cbranch_vccz .LBB7_59
; %bb.57:
	s_cmp_eq_u32 s28, 29
	s_mov_b32 s0, -1
	s_cbranch_scc0 .LBB7_59
; %bb.58:
	s_wait_xcnt 0x0
	s_delay_alu instid0(VALU_DEP_3) | instskip(SKIP_3) | instid1(VALU_DEP_1)
	v_trunc_f64_e32 v[2:3], v[0:1]
	s_mov_b32 s29, -1
	s_mov_b32 s0, 0
	s_mov_b32 s30, 0
	v_ldexp_f64 v[8:9], v[2:3], 0xffffffe0
	s_delay_alu instid0(VALU_DEP_1) | instskip(NEXT) | instid1(VALU_DEP_1)
	v_floor_f64_e32 v[8:9], v[8:9]
	v_fmamk_f64 v[2:3], v[8:9], 0xc1f00000, v[2:3]
	v_cvt_u32_f64_e32 v9, v[8:9]
	s_delay_alu instid0(VALU_DEP_2)
	v_cvt_u32_f64_e32 v8, v[2:3]
	global_store_b64 v[6:7], v[8:9], off
	s_branch .LBB7_60
.LBB7_59:
	s_mov_b32 s30, 0
.LBB7_60:
	s_delay_alu instid0(SALU_CYCLE_1)
	s_and_b32 vcc_lo, exec_lo, s30
	s_cbranch_vccz .LBB7_76
; %bb.61:
	s_cmp_lt_i32 s28, 27
	s_mov_b32 s29, -1
	s_cbranch_scc1 .LBB7_67
; %bb.62:
	s_wait_xcnt 0x0
	s_delay_alu instid0(VALU_DEP_3)
	v_cvt_u32_f64_e32 v2, v[0:1]
	s_cmp_gt_i32 s28, 27
	s_cbranch_scc0 .LBB7_64
; %bb.63:
	s_mov_b32 s29, 0
	global_store_b32 v[6:7], v2, off
.LBB7_64:
	s_and_not1_b32 vcc_lo, exec_lo, s29
	s_cbranch_vccnz .LBB7_66
; %bb.65:
	global_store_b16 v[6:7], v2, off
.LBB7_66:
	s_mov_b32 s29, 0
.LBB7_67:
	s_delay_alu instid0(SALU_CYCLE_1)
	s_and_not1_b32 vcc_lo, exec_lo, s29
	s_cbranch_vccnz .LBB7_75
; %bb.68:
	s_wait_xcnt 0x0
	s_delay_alu instid0(VALU_DEP_3) | instskip(SKIP_2) | instid1(VALU_DEP_2)
	v_cvt_f32_f64_e32 v2, v[0:1]
	v_mov_b32_e32 v5, 0x80
	s_mov_b32 s29, exec_lo
	v_and_b32_e32 v3, 0x7fffffff, v2
	s_delay_alu instid0(VALU_DEP_1)
	v_cmpx_gt_u32_e32 0x43800000, v3
	s_cbranch_execz .LBB7_74
; %bb.69:
	v_cmp_lt_u32_e32 vcc_lo, 0x3bffffff, v3
	s_mov_b32 s30, 0
                                        ; implicit-def: $vgpr3
	s_and_saveexec_b32 s31, vcc_lo
	s_delay_alu instid0(SALU_CYCLE_1)
	s_xor_b32 s31, exec_lo, s31
	s_cbranch_execz .LBB7_314
; %bb.70:
	v_bfe_u32 v3, v2, 20, 1
	s_mov_b32 s30, exec_lo
	s_delay_alu instid0(VALU_DEP_1) | instskip(NEXT) | instid1(VALU_DEP_1)
	v_add3_u32 v3, v2, v3, 0x487ffff
	v_lshrrev_b32_e32 v3, 20, v3
	s_and_not1_saveexec_b32 s31, s31
	s_cbranch_execnz .LBB7_315
.LBB7_71:
	s_or_b32 exec_lo, exec_lo, s31
	v_mov_b32_e32 v5, 0
	s_and_saveexec_b32 s31, s30
.LBB7_72:
	v_lshrrev_b32_e32 v2, 24, v2
	s_delay_alu instid0(VALU_DEP_1)
	v_and_or_b32 v5, 0x80, v2, v3
.LBB7_73:
	s_or_b32 exec_lo, exec_lo, s31
.LBB7_74:
	s_delay_alu instid0(SALU_CYCLE_1)
	s_or_b32 exec_lo, exec_lo, s29
	global_store_b8 v[6:7], v5, off
.LBB7_75:
	s_mov_b32 s29, -1
.LBB7_76:
	s_mov_b32 s30, 0
.LBB7_77:
	s_delay_alu instid0(SALU_CYCLE_1)
	s_and_b32 vcc_lo, exec_lo, s30
	s_cbranch_vccz .LBB7_118
; %bb.78:
	s_cmp_gt_i32 s28, 22
	s_mov_b32 s30, -1
	s_cbranch_scc0 .LBB7_110
; %bb.79:
	s_cmp_lt_i32 s28, 24
	s_mov_b32 s29, -1
	s_cbranch_scc1 .LBB7_99
; %bb.80:
	s_cmp_gt_i32 s28, 24
	s_cbranch_scc0 .LBB7_88
; %bb.81:
	s_wait_xcnt 0x0
	s_delay_alu instid0(VALU_DEP_3) | instskip(SKIP_2) | instid1(VALU_DEP_2)
	v_cvt_f32_f64_e32 v2, v[0:1]
	v_mov_b32_e32 v5, 0x80
	s_mov_b32 s29, exec_lo
	v_and_b32_e32 v3, 0x7fffffff, v2
	s_delay_alu instid0(VALU_DEP_1)
	v_cmpx_gt_u32_e32 0x47800000, v3
	s_cbranch_execz .LBB7_87
; %bb.82:
	v_cmp_lt_u32_e32 vcc_lo, 0x37ffffff, v3
	s_mov_b32 s30, 0
                                        ; implicit-def: $vgpr3
	s_and_saveexec_b32 s31, vcc_lo
	s_delay_alu instid0(SALU_CYCLE_1)
	s_xor_b32 s31, exec_lo, s31
	s_cbranch_execz .LBB7_318
; %bb.83:
	v_bfe_u32 v3, v2, 21, 1
	s_mov_b32 s30, exec_lo
	s_delay_alu instid0(VALU_DEP_1) | instskip(NEXT) | instid1(VALU_DEP_1)
	v_add3_u32 v3, v2, v3, 0x88fffff
	v_lshrrev_b32_e32 v3, 21, v3
	s_and_not1_saveexec_b32 s31, s31
	s_cbranch_execnz .LBB7_319
.LBB7_84:
	s_or_b32 exec_lo, exec_lo, s31
	v_mov_b32_e32 v5, 0
	s_and_saveexec_b32 s31, s30
.LBB7_85:
	v_lshrrev_b32_e32 v2, 24, v2
	s_delay_alu instid0(VALU_DEP_1)
	v_and_or_b32 v5, 0x80, v2, v3
.LBB7_86:
	s_or_b32 exec_lo, exec_lo, s31
.LBB7_87:
	s_delay_alu instid0(SALU_CYCLE_1)
	s_or_b32 exec_lo, exec_lo, s29
	s_mov_b32 s29, 0
	global_store_b8 v[6:7], v5, off
.LBB7_88:
	s_and_b32 vcc_lo, exec_lo, s29
	s_cbranch_vccz .LBB7_98
; %bb.89:
	s_wait_xcnt 0x0
	s_delay_alu instid0(VALU_DEP_3) | instskip(SKIP_1) | instid1(VALU_DEP_1)
	v_cvt_f32_f64_e32 v2, v[0:1]
	s_mov_b32 s29, exec_lo
                                        ; implicit-def: $vgpr3
	v_and_b32_e32 v5, 0x7fffffff, v2
	s_delay_alu instid0(VALU_DEP_1)
	v_cmpx_gt_u32_e32 0x43f00000, v5
	s_xor_b32 s29, exec_lo, s29
	s_cbranch_execz .LBB7_95
; %bb.90:
	s_mov_b32 s30, exec_lo
                                        ; implicit-def: $vgpr3
	v_cmpx_lt_u32_e32 0x3c7fffff, v5
	s_xor_b32 s30, exec_lo, s30
; %bb.91:
	v_bfe_u32 v3, v2, 20, 1
	s_delay_alu instid0(VALU_DEP_1) | instskip(NEXT) | instid1(VALU_DEP_1)
	v_add3_u32 v3, v2, v3, 0x407ffff
	v_and_b32_e32 v5, 0xff00000, v3
	v_lshrrev_b32_e32 v3, 20, v3
	s_delay_alu instid0(VALU_DEP_2) | instskip(NEXT) | instid1(VALU_DEP_2)
	v_cmp_ne_u32_e32 vcc_lo, 0x7f00000, v5
	v_cndmask_b32_e32 v3, 0x7e, v3, vcc_lo
; %bb.92:
	s_and_not1_saveexec_b32 s30, s30
; %bb.93:
	v_add_f32_e64 v3, 0x46800000, |v2|
; %bb.94:
	s_or_b32 exec_lo, exec_lo, s30
                                        ; implicit-def: $vgpr5
.LBB7_95:
	s_and_not1_saveexec_b32 s29, s29
; %bb.96:
	v_mov_b32_e32 v3, 0x7f
	v_cmp_lt_u32_e32 vcc_lo, 0x7f800000, v5
	s_delay_alu instid0(VALU_DEP_2)
	v_cndmask_b32_e32 v3, 0x7e, v3, vcc_lo
; %bb.97:
	s_or_b32 exec_lo, exec_lo, s29
	v_lshrrev_b32_e32 v2, 24, v2
	s_delay_alu instid0(VALU_DEP_1)
	v_and_or_b32 v2, 0x80, v2, v3
	global_store_b8 v[6:7], v2, off
.LBB7_98:
	s_mov_b32 s29, 0
.LBB7_99:
	s_delay_alu instid0(SALU_CYCLE_1)
	s_and_not1_b32 vcc_lo, exec_lo, s29
	s_cbranch_vccnz .LBB7_109
; %bb.100:
	s_wait_xcnt 0x0
	s_delay_alu instid0(VALU_DEP_3) | instskip(SKIP_1) | instid1(VALU_DEP_1)
	v_cvt_f32_f64_e32 v2, v[0:1]
	s_mov_b32 s29, exec_lo
                                        ; implicit-def: $vgpr3
	v_and_b32_e32 v5, 0x7fffffff, v2
	s_delay_alu instid0(VALU_DEP_1)
	v_cmpx_gt_u32_e32 0x47800000, v5
	s_xor_b32 s29, exec_lo, s29
	s_cbranch_execz .LBB7_106
; %bb.101:
	s_mov_b32 s30, exec_lo
                                        ; implicit-def: $vgpr3
	v_cmpx_lt_u32_e32 0x387fffff, v5
	s_xor_b32 s30, exec_lo, s30
; %bb.102:
	v_bfe_u32 v3, v2, 21, 1
	s_delay_alu instid0(VALU_DEP_1) | instskip(NEXT) | instid1(VALU_DEP_1)
	v_add3_u32 v3, v2, v3, 0x80fffff
	v_lshrrev_b32_e32 v3, 21, v3
; %bb.103:
	s_and_not1_saveexec_b32 s30, s30
; %bb.104:
	v_add_f32_e64 v3, 0x43000000, |v2|
; %bb.105:
	s_or_b32 exec_lo, exec_lo, s30
                                        ; implicit-def: $vgpr5
.LBB7_106:
	s_and_not1_saveexec_b32 s29, s29
; %bb.107:
	v_mov_b32_e32 v3, 0x7f
	v_cmp_lt_u32_e32 vcc_lo, 0x7f800000, v5
	s_delay_alu instid0(VALU_DEP_2)
	v_cndmask_b32_e32 v3, 0x7c, v3, vcc_lo
; %bb.108:
	s_or_b32 exec_lo, exec_lo, s29
	v_lshrrev_b32_e32 v2, 24, v2
	s_delay_alu instid0(VALU_DEP_1)
	v_and_or_b32 v2, 0x80, v2, v3
	global_store_b8 v[6:7], v2, off
.LBB7_109:
	s_mov_b32 s30, 0
	s_mov_b32 s29, -1
.LBB7_110:
	s_and_not1_b32 vcc_lo, exec_lo, s30
	s_cbranch_vccnz .LBB7_118
; %bb.111:
	s_cmp_gt_i32 s28, 14
	s_mov_b32 s30, -1
	s_cbranch_scc0 .LBB7_115
; %bb.112:
	s_cmp_eq_u32 s28, 15
	s_mov_b32 s0, -1
	s_cbranch_scc0 .LBB7_114
; %bb.113:
	s_wait_xcnt 0x0
	s_delay_alu instid0(VALU_DEP_3) | instskip(SKIP_2) | instid1(VALU_DEP_1)
	v_cvt_f32_f64_e32 v2, v[0:1]
	s_mov_b32 s29, -1
	s_mov_b32 s0, 0
	v_bfe_u32 v3, v2, 16, 1
	v_cmp_o_f32_e32 vcc_lo, v2, v2
	s_delay_alu instid0(VALU_DEP_2) | instskip(NEXT) | instid1(VALU_DEP_1)
	v_add3_u32 v3, v2, v3, 0x7fff
	v_lshrrev_b32_e32 v3, 16, v3
	s_delay_alu instid0(VALU_DEP_1)
	v_cndmask_b32_e32 v2, 0x7fc0, v3, vcc_lo
	global_store_b16 v[6:7], v2, off
.LBB7_114:
	s_mov_b32 s30, 0
.LBB7_115:
	s_delay_alu instid0(SALU_CYCLE_1)
	s_and_b32 vcc_lo, exec_lo, s30
	s_cbranch_vccz .LBB7_118
; %bb.116:
	s_cmp_eq_u32 s28, 11
	s_mov_b32 s0, -1
	s_cbranch_scc0 .LBB7_118
; %bb.117:
	s_delay_alu instid0(VALU_DEP_3)
	v_cmp_neq_f64_e32 vcc_lo, 0, v[0:1]
	s_mov_b32 s29, -1
	s_mov_b32 s0, 0
	s_wait_xcnt 0x0
	v_cndmask_b32_e64 v2, 0, 1, vcc_lo
	global_store_b8 v[6:7], v2, off
.LBB7_118:
	s_branch .LBB7_37
.LBB7_119:
	s_and_b32 s27, 0xffff, s27
	s_mov_b32 s28, -1
	s_cmp_lt_i32 s27, 5
	s_cbranch_scc1 .LBB7_140
; %bb.120:
	s_cmp_lt_i32 s27, 8
	s_cbranch_scc1 .LBB7_130
; %bb.121:
	;; [unrolled: 3-line block ×3, first 2 shown]
	s_cmp_gt_i32 s27, 9
	s_cbranch_scc0 .LBB7_124
; %bb.123:
	s_wait_xcnt 0x0
	v_mov_b32_e32 v2, 0
	s_mov_b32 s28, 0
	s_delay_alu instid0(VALU_DEP_1)
	v_mov_b32_e32 v3, v2
	global_store_b128 v[6:7], v[0:3], off
.LBB7_124:
	s_and_not1_b32 vcc_lo, exec_lo, s28
	s_cbranch_vccnz .LBB7_126
; %bb.125:
	s_wait_xcnt 0x0
	s_delay_alu instid0(VALU_DEP_3)
	v_cvt_f32_f64_e32 v2, v[0:1]
	v_mov_b32_e32 v3, 0
	global_store_b64 v[6:7], v[2:3], off
.LBB7_126:
	s_mov_b32 s28, 0
.LBB7_127:
	s_delay_alu instid0(SALU_CYCLE_1)
	s_and_not1_b32 vcc_lo, exec_lo, s28
	s_cbranch_vccnz .LBB7_129
; %bb.128:
	s_wait_xcnt 0x0
	s_delay_alu instid0(VALU_DEP_3) | instskip(SKIP_2) | instid1(VALU_DEP_3)
	v_and_or_b32 v2, 0x1ff, v1, v0
	v_lshrrev_b32_e32 v3, 8, v1
	v_bfe_u32 v5, v1, 20, 11
	v_cmp_ne_u32_e32 vcc_lo, 0, v2
	s_delay_alu instid0(VALU_DEP_2) | instskip(SKIP_2) | instid1(VALU_DEP_1)
	v_sub_nc_u32_e32 v8, 0x3f1, v5
	v_add_nc_u32_e32 v5, 0xfffffc10, v5
	v_cndmask_b32_e64 v2, 0, 1, vcc_lo
	v_and_or_b32 v2, 0xffe, v3, v2
	s_delay_alu instid0(VALU_DEP_4) | instskip(NEXT) | instid1(VALU_DEP_2)
	v_med3_i32 v3, v8, 0, 13
	v_or_b32_e32 v8, 0x1000, v2
	s_delay_alu instid0(VALU_DEP_1) | instskip(NEXT) | instid1(VALU_DEP_1)
	v_lshrrev_b32_e32 v9, v3, v8
	v_lshlrev_b32_e32 v3, v3, v9
	s_delay_alu instid0(VALU_DEP_1) | instskip(SKIP_3) | instid1(VALU_DEP_2)
	v_cmp_ne_u32_e32 vcc_lo, v3, v8
	v_lshl_or_b32 v8, v5, 12, v2
	v_cndmask_b32_e64 v3, 0, 1, vcc_lo
	v_cmp_gt_i32_e32 vcc_lo, 1, v5
	v_or_b32_e32 v3, v9, v3
	s_delay_alu instid0(VALU_DEP_1) | instskip(NEXT) | instid1(VALU_DEP_1)
	v_cndmask_b32_e32 v3, v8, v3, vcc_lo
	v_dual_lshrrev_b32 v3, 2, v3 :: v_dual_bitop2_b32 v8, 7, v3 bitop3:0x40
	s_delay_alu instid0(VALU_DEP_1) | instskip(SKIP_4) | instid1(VALU_DEP_2)
	v_cmp_lt_i32_e32 vcc_lo, 5, v8
	v_cndmask_b32_e64 v9, 0, 1, vcc_lo
	v_cmp_eq_u32_e32 vcc_lo, 3, v8
	v_cndmask_b32_e64 v8, 0, 1, vcc_lo
	v_cmp_ne_u32_e32 vcc_lo, 0, v2
	v_or_b32_e32 v8, v8, v9
	v_mov_b32_e32 v9, 0x7e00
	s_delay_alu instid0(VALU_DEP_1) | instskip(SKIP_1) | instid1(VALU_DEP_2)
	v_dual_cndmask_b32 v2, 0x7c00, v9 :: v_dual_add_nc_u32 v3, v3, v8
	v_cmp_gt_i32_e32 vcc_lo, 31, v5
	v_dual_cndmask_b32 v3, 0x7c00, v3 :: v_dual_lshrrev_b32 v8, 16, v1
	v_cmp_eq_u32_e32 vcc_lo, 0x40f, v5
	s_delay_alu instid0(VALU_DEP_2) | instskip(NEXT) | instid1(VALU_DEP_3)
	v_cndmask_b32_e32 v2, v3, v2, vcc_lo
	v_and_b32_e32 v3, 0x8000, v8
	s_delay_alu instid0(VALU_DEP_1)
	v_bitop3_b32 v2, v3, 0xffff, v2 bitop3:0xc8
	global_store_b32 v[6:7], v2, off
.LBB7_129:
	s_mov_b32 s28, 0
.LBB7_130:
	s_delay_alu instid0(SALU_CYCLE_1)
	s_and_not1_b32 vcc_lo, exec_lo, s28
	s_cbranch_vccnz .LBB7_139
; %bb.131:
	s_cmp_lt_i32 s27, 6
	s_mov_b32 s28, -1
	s_cbranch_scc1 .LBB7_137
; %bb.132:
	s_cmp_gt_i32 s27, 6
	s_cbranch_scc0 .LBB7_134
; %bb.133:
	s_mov_b32 s28, 0
	global_store_b64 v[6:7], v[0:1], off
.LBB7_134:
	s_and_not1_b32 vcc_lo, exec_lo, s28
	s_cbranch_vccnz .LBB7_136
; %bb.135:
	s_wait_xcnt 0x0
	s_delay_alu instid0(VALU_DEP_3)
	v_cvt_f32_f64_e32 v2, v[0:1]
	global_store_b32 v[6:7], v2, off
.LBB7_136:
	s_mov_b32 s28, 0
.LBB7_137:
	s_delay_alu instid0(SALU_CYCLE_1)
	s_and_not1_b32 vcc_lo, exec_lo, s28
	s_cbranch_vccnz .LBB7_139
; %bb.138:
	s_wait_xcnt 0x0
	s_delay_alu instid0(VALU_DEP_3) | instskip(SKIP_2) | instid1(VALU_DEP_3)
	v_and_or_b32 v2, 0x1ff, v1, v0
	v_lshrrev_b32_e32 v3, 8, v1
	v_bfe_u32 v5, v1, 20, 11
	v_cmp_ne_u32_e32 vcc_lo, 0, v2
	s_delay_alu instid0(VALU_DEP_2) | instskip(SKIP_2) | instid1(VALU_DEP_1)
	v_sub_nc_u32_e32 v8, 0x3f1, v5
	v_add_nc_u32_e32 v5, 0xfffffc10, v5
	v_cndmask_b32_e64 v2, 0, 1, vcc_lo
	v_and_or_b32 v2, 0xffe, v3, v2
	s_delay_alu instid0(VALU_DEP_4) | instskip(NEXT) | instid1(VALU_DEP_2)
	v_med3_i32 v3, v8, 0, 13
	v_or_b32_e32 v8, 0x1000, v2
	s_delay_alu instid0(VALU_DEP_1) | instskip(NEXT) | instid1(VALU_DEP_1)
	v_lshrrev_b32_e32 v9, v3, v8
	v_lshlrev_b32_e32 v3, v3, v9
	s_delay_alu instid0(VALU_DEP_1) | instskip(SKIP_3) | instid1(VALU_DEP_2)
	v_cmp_ne_u32_e32 vcc_lo, v3, v8
	v_lshl_or_b32 v8, v5, 12, v2
	v_cndmask_b32_e64 v3, 0, 1, vcc_lo
	v_cmp_gt_i32_e32 vcc_lo, 1, v5
	v_or_b32_e32 v3, v9, v3
	s_delay_alu instid0(VALU_DEP_1) | instskip(NEXT) | instid1(VALU_DEP_1)
	v_cndmask_b32_e32 v3, v8, v3, vcc_lo
	v_dual_lshrrev_b32 v3, 2, v3 :: v_dual_bitop2_b32 v8, 7, v3 bitop3:0x40
	s_delay_alu instid0(VALU_DEP_1) | instskip(SKIP_4) | instid1(VALU_DEP_2)
	v_cmp_lt_i32_e32 vcc_lo, 5, v8
	v_cndmask_b32_e64 v9, 0, 1, vcc_lo
	v_cmp_eq_u32_e32 vcc_lo, 3, v8
	v_cndmask_b32_e64 v8, 0, 1, vcc_lo
	v_cmp_ne_u32_e32 vcc_lo, 0, v2
	v_or_b32_e32 v8, v8, v9
	v_mov_b32_e32 v9, 0x7e00
	s_delay_alu instid0(VALU_DEP_1) | instskip(SKIP_1) | instid1(VALU_DEP_2)
	v_dual_cndmask_b32 v2, 0x7c00, v9 :: v_dual_add_nc_u32 v3, v3, v8
	v_cmp_gt_i32_e32 vcc_lo, 31, v5
	v_cndmask_b32_e32 v3, 0x7c00, v3, vcc_lo
	v_cmp_eq_u32_e32 vcc_lo, 0x40f, v5
	s_delay_alu instid0(VALU_DEP_2) | instskip(NEXT) | instid1(VALU_DEP_1)
	v_dual_cndmask_b32 v2, v3, v2 :: v_dual_lshrrev_b32 v3, 16, v1
	v_and_or_b32 v2, 0x8000, v3, v2
	global_store_b16 v[6:7], v2, off
.LBB7_139:
	s_mov_b32 s28, 0
.LBB7_140:
	s_delay_alu instid0(SALU_CYCLE_1)
	s_and_not1_b32 vcc_lo, exec_lo, s28
	s_cbranch_vccnz .LBB7_156
; %bb.141:
	s_cmp_lt_i32 s27, 2
	s_mov_b32 s28, -1
	s_cbranch_scc1 .LBB7_151
; %bb.142:
	s_cmp_lt_i32 s27, 3
	s_cbranch_scc1 .LBB7_148
; %bb.143:
	s_cmp_gt_i32 s27, 3
	s_cbranch_scc0 .LBB7_145
; %bb.144:
	s_wait_xcnt 0x0
	s_delay_alu instid0(VALU_DEP_3) | instskip(SKIP_1) | instid1(VALU_DEP_1)
	v_trunc_f64_e32 v[2:3], v[0:1]
	s_mov_b32 s28, 0
	v_ldexp_f64 v[8:9], v[2:3], 0xffffffe0
	s_delay_alu instid0(VALU_DEP_1) | instskip(NEXT) | instid1(VALU_DEP_1)
	v_floor_f64_e32 v[8:9], v[8:9]
	v_fmamk_f64 v[2:3], v[8:9], 0xc1f00000, v[2:3]
	v_cvt_i32_f64_e32 v9, v[8:9]
	s_delay_alu instid0(VALU_DEP_2)
	v_cvt_u32_f64_e32 v8, v[2:3]
	global_store_b64 v[6:7], v[8:9], off
.LBB7_145:
	s_and_not1_b32 vcc_lo, exec_lo, s28
	s_cbranch_vccnz .LBB7_147
; %bb.146:
	s_wait_xcnt 0x0
	s_delay_alu instid0(VALU_DEP_3)
	v_cvt_i32_f64_e32 v2, v[0:1]
	global_store_b32 v[6:7], v2, off
.LBB7_147:
	s_mov_b32 s28, 0
.LBB7_148:
	s_delay_alu instid0(SALU_CYCLE_1)
	s_and_not1_b32 vcc_lo, exec_lo, s28
	s_cbranch_vccnz .LBB7_150
; %bb.149:
	s_wait_xcnt 0x0
	s_delay_alu instid0(VALU_DEP_3)
	v_cvt_i32_f64_e32 v2, v[0:1]
	global_store_b16 v[6:7], v2, off
.LBB7_150:
	s_mov_b32 s28, 0
.LBB7_151:
	s_delay_alu instid0(SALU_CYCLE_1)
	s_and_not1_b32 vcc_lo, exec_lo, s28
	s_cbranch_vccnz .LBB7_156
; %bb.152:
	s_cmp_gt_i32 s27, 0
	s_mov_b32 s27, -1
	s_cbranch_scc0 .LBB7_154
; %bb.153:
	s_wait_xcnt 0x0
	s_delay_alu instid0(VALU_DEP_3)
	v_cvt_i32_f64_e32 v2, v[0:1]
	s_mov_b32 s27, 0
	global_store_b8 v[6:7], v2, off
.LBB7_154:
	s_and_not1_b32 vcc_lo, exec_lo, s27
	s_cbranch_vccnz .LBB7_156
; %bb.155:
	s_wait_xcnt 0x0
	s_delay_alu instid0(VALU_DEP_3) | instskip(NEXT) | instid1(VALU_DEP_1)
	v_trunc_f64_e32 v[0:1], v[0:1]
	v_ldexp_f64 v[2:3], v[0:1], 0xffffffe0
	s_delay_alu instid0(VALU_DEP_1) | instskip(NEXT) | instid1(VALU_DEP_1)
	v_floor_f64_e32 v[2:3], v[2:3]
	v_fmamk_f64 v[0:1], v[2:3], 0xc1f00000, v[0:1]
	s_delay_alu instid0(VALU_DEP_1)
	v_cvt_u32_f64_e32 v0, v[0:1]
	global_store_b8 v[6:7], v0, off
.LBB7_156:
.LBB7_157:
	v_add_nc_u32_e32 v4, 0x80, v4
	s_mov_b32 s27, -1
	s_branch .LBB7_268
.LBB7_158:
	s_mov_b32 s26, -1
                                        ; implicit-def: $vgpr6_vgpr7
.LBB7_159:
	s_mov_b32 s28, 0
.LBB7_160:
	s_delay_alu instid0(SALU_CYCLE_1)
	s_and_b32 vcc_lo, exec_lo, s28
	s_cbranch_vccz .LBB7_164
; %bb.161:
	s_cmp_eq_u32 s0, 29
	s_cbranch_scc0 .LBB7_163
; %bb.162:
	global_load_b64 v[6:7], v[0:1], off
	s_mov_b32 s27, -1
	s_mov_b32 s26, 0
	s_mov_b32 s28, 0
	s_wait_loadcnt 0x0
	v_cvt_f64_u32_e32 v[8:9], v7
	v_cvt_f64_u32_e32 v[6:7], v6
	s_delay_alu instid0(VALU_DEP_2) | instskip(NEXT) | instid1(VALU_DEP_1)
	v_ldexp_f64 v[8:9], v[8:9], 32
	v_add_f64_e32 v[6:7], v[8:9], v[6:7]
	s_branch .LBB7_165
.LBB7_163:
	s_mov_b32 s26, -1
                                        ; implicit-def: $vgpr6_vgpr7
.LBB7_164:
	s_mov_b32 s28, 0
.LBB7_165:
	s_delay_alu instid0(SALU_CYCLE_1)
	s_and_b32 vcc_lo, exec_lo, s28
	s_cbranch_vccz .LBB7_183
; %bb.166:
	s_cmp_lt_i32 s0, 27
	s_cbranch_scc1 .LBB7_169
; %bb.167:
	s_cmp_gt_i32 s0, 27
	s_cbranch_scc0 .LBB7_170
; %bb.168:
	global_load_b32 v3, v[0:1], off
	s_mov_b32 s27, 0
	s_wait_loadcnt 0x0
	v_cvt_f64_u32_e32 v[6:7], v3
	s_branch .LBB7_171
.LBB7_169:
	s_mov_b32 s27, -1
                                        ; implicit-def: $vgpr6_vgpr7
	s_branch .LBB7_174
.LBB7_170:
	s_mov_b32 s27, -1
                                        ; implicit-def: $vgpr6_vgpr7
.LBB7_171:
	s_delay_alu instid0(SALU_CYCLE_1)
	s_and_not1_b32 vcc_lo, exec_lo, s27
	s_cbranch_vccnz .LBB7_173
; %bb.172:
	global_load_u16 v3, v[0:1], off
	s_wait_loadcnt 0x0
	v_cvt_f64_u32_e32 v[6:7], v3
.LBB7_173:
	s_mov_b32 s27, 0
.LBB7_174:
	s_delay_alu instid0(SALU_CYCLE_1)
	s_and_not1_b32 vcc_lo, exec_lo, s27
	s_cbranch_vccnz .LBB7_182
; %bb.175:
	global_load_u8 v3, v[0:1], off
	s_mov_b32 s27, 0
	s_mov_b32 s28, exec_lo
	s_wait_loadcnt 0x0
	v_cmpx_lt_i16_e32 0x7f, v3
	s_xor_b32 s28, exec_lo, s28
	s_cbranch_execz .LBB7_195
; %bb.176:
	s_mov_b32 s27, -1
	s_mov_b32 s29, exec_lo
	v_cmpx_eq_u16_e32 0x80, v3
; %bb.177:
	s_xor_b32 s27, exec_lo, -1
; %bb.178:
	s_or_b32 exec_lo, exec_lo, s29
	s_delay_alu instid0(SALU_CYCLE_1)
	s_and_b32 s27, s27, exec_lo
	s_or_saveexec_b32 s28, s28
	v_mov_b64_e32 v[6:7], 0x7ff8000020000000
	s_xor_b32 exec_lo, exec_lo, s28
	s_cbranch_execnz .LBB7_196
.LBB7_179:
	s_or_b32 exec_lo, exec_lo, s28
	s_and_saveexec_b32 s28, s27
	s_cbranch_execz .LBB7_181
.LBB7_180:
	v_and_b32_e32 v5, 0xffff, v3
	s_delay_alu instid0(VALU_DEP_1) | instskip(SKIP_1) | instid1(VALU_DEP_2)
	v_and_b32_e32 v6, 7, v5
	v_bfe_u32 v9, v5, 3, 4
	v_clz_i32_u32_e32 v7, v6
	s_delay_alu instid0(VALU_DEP_2) | instskip(NEXT) | instid1(VALU_DEP_2)
	v_cmp_eq_u32_e32 vcc_lo, 0, v9
	v_min_u32_e32 v7, 32, v7
	s_delay_alu instid0(VALU_DEP_1) | instskip(NEXT) | instid1(VALU_DEP_1)
	v_subrev_nc_u32_e32 v8, 28, v7
	v_dual_lshlrev_b32 v5, v8, v5 :: v_dual_sub_nc_u32 v7, 29, v7
	s_delay_alu instid0(VALU_DEP_1) | instskip(NEXT) | instid1(VALU_DEP_1)
	v_dual_lshlrev_b32 v3, 24, v3 :: v_dual_bitop2_b32 v5, 7, v5 bitop3:0x40
	v_dual_cndmask_b32 v5, v6, v5, vcc_lo :: v_dual_cndmask_b32 v7, v9, v7, vcc_lo
	s_delay_alu instid0(VALU_DEP_2) | instskip(NEXT) | instid1(VALU_DEP_2)
	v_and_b32_e32 v3, 0x80000000, v3
	v_lshlrev_b32_e32 v5, 20, v5
	s_delay_alu instid0(VALU_DEP_3) | instskip(NEXT) | instid1(VALU_DEP_1)
	v_lshl_add_u32 v6, v7, 23, 0x3b800000
	v_or3_b32 v3, v3, v6, v5
	s_delay_alu instid0(VALU_DEP_1)
	v_cvt_f64_f32_e32 v[6:7], v3
.LBB7_181:
	s_or_b32 exec_lo, exec_lo, s28
.LBB7_182:
	s_mov_b32 s27, -1
.LBB7_183:
	s_branch .LBB7_218
.LBB7_184:
	s_cmp_gt_i32 s0, 22
	s_cbranch_scc0 .LBB7_194
; %bb.185:
	s_cmp_lt_i32 s0, 24
	s_cbranch_scc1 .LBB7_197
; %bb.186:
	s_cmp_gt_i32 s0, 24
	s_cbranch_scc0 .LBB7_198
; %bb.187:
	global_load_u8 v3, v[0:1], off
	s_mov_b32 s27, 0
	s_mov_b32 s28, exec_lo
	s_wait_loadcnt 0x0
	v_cmpx_lt_i16_e32 0x7f, v3
	s_xor_b32 s28, exec_lo, s28
	s_cbranch_execz .LBB7_210
; %bb.188:
	s_mov_b32 s27, -1
	s_mov_b32 s29, exec_lo
	v_cmpx_eq_u16_e32 0x80, v3
; %bb.189:
	s_xor_b32 s27, exec_lo, -1
; %bb.190:
	s_or_b32 exec_lo, exec_lo, s29
	s_delay_alu instid0(SALU_CYCLE_1)
	s_and_b32 s27, s27, exec_lo
	s_or_saveexec_b32 s28, s28
	v_mov_b64_e32 v[6:7], 0x7ff8000020000000
	s_xor_b32 exec_lo, exec_lo, s28
	s_cbranch_execnz .LBB7_211
.LBB7_191:
	s_or_b32 exec_lo, exec_lo, s28
	s_and_saveexec_b32 s28, s27
	s_cbranch_execz .LBB7_193
.LBB7_192:
	v_and_b32_e32 v5, 0xffff, v3
	s_delay_alu instid0(VALU_DEP_1) | instskip(SKIP_1) | instid1(VALU_DEP_2)
	v_and_b32_e32 v6, 3, v5
	v_bfe_u32 v9, v5, 2, 5
	v_clz_i32_u32_e32 v7, v6
	s_delay_alu instid0(VALU_DEP_2) | instskip(NEXT) | instid1(VALU_DEP_2)
	v_cmp_eq_u32_e32 vcc_lo, 0, v9
	v_min_u32_e32 v7, 32, v7
	s_delay_alu instid0(VALU_DEP_1) | instskip(NEXT) | instid1(VALU_DEP_1)
	v_subrev_nc_u32_e32 v8, 29, v7
	v_dual_lshlrev_b32 v5, v8, v5 :: v_dual_sub_nc_u32 v7, 30, v7
	s_delay_alu instid0(VALU_DEP_1) | instskip(NEXT) | instid1(VALU_DEP_1)
	v_dual_lshlrev_b32 v3, 24, v3 :: v_dual_bitop2_b32 v5, 3, v5 bitop3:0x40
	v_dual_cndmask_b32 v5, v6, v5, vcc_lo :: v_dual_cndmask_b32 v7, v9, v7, vcc_lo
	s_delay_alu instid0(VALU_DEP_2) | instskip(NEXT) | instid1(VALU_DEP_2)
	v_and_b32_e32 v3, 0x80000000, v3
	v_lshlrev_b32_e32 v5, 21, v5
	s_delay_alu instid0(VALU_DEP_3) | instskip(NEXT) | instid1(VALU_DEP_1)
	v_lshl_add_u32 v6, v7, 23, 0x37800000
	v_or3_b32 v3, v3, v6, v5
	s_delay_alu instid0(VALU_DEP_1)
	v_cvt_f64_f32_e32 v[6:7], v3
.LBB7_193:
	s_or_b32 exec_lo, exec_lo, s28
	s_mov_b32 s27, 0
	s_branch .LBB7_199
.LBB7_194:
	s_mov_b32 s28, -1
                                        ; implicit-def: $vgpr6_vgpr7
	s_branch .LBB7_205
.LBB7_195:
	s_or_saveexec_b32 s28, s28
	v_mov_b64_e32 v[6:7], 0x7ff8000020000000
	s_xor_b32 exec_lo, exec_lo, s28
	s_cbranch_execz .LBB7_179
.LBB7_196:
	v_cmp_ne_u16_e32 vcc_lo, 0, v3
	v_mov_b64_e32 v[6:7], 0
	s_and_not1_b32 s27, s27, exec_lo
	s_and_b32 s29, vcc_lo, exec_lo
	s_delay_alu instid0(SALU_CYCLE_1)
	s_or_b32 s27, s27, s29
	s_or_b32 exec_lo, exec_lo, s28
	s_and_saveexec_b32 s28, s27
	s_cbranch_execnz .LBB7_180
	s_branch .LBB7_181
.LBB7_197:
	s_mov_b32 s27, -1
                                        ; implicit-def: $vgpr6_vgpr7
	s_branch .LBB7_202
.LBB7_198:
	s_mov_b32 s27, -1
                                        ; implicit-def: $vgpr6_vgpr7
.LBB7_199:
	s_delay_alu instid0(SALU_CYCLE_1)
	s_and_b32 vcc_lo, exec_lo, s27
	s_cbranch_vccz .LBB7_201
; %bb.200:
	global_load_u8 v3, v[0:1], off
	s_wait_loadcnt 0x0
	v_lshlrev_b32_e32 v3, 24, v3
	s_delay_alu instid0(VALU_DEP_1) | instskip(NEXT) | instid1(VALU_DEP_1)
	v_and_b32_e32 v5, 0x7f000000, v3
	v_clz_i32_u32_e32 v6, v5
	v_cmp_ne_u32_e32 vcc_lo, 0, v5
	v_add_nc_u32_e32 v8, 0x1000000, v5
	s_delay_alu instid0(VALU_DEP_3) | instskip(NEXT) | instid1(VALU_DEP_1)
	v_min_u32_e32 v6, 32, v6
	v_sub_nc_u32_e64 v6, v6, 4 clamp
	s_delay_alu instid0(VALU_DEP_1) | instskip(NEXT) | instid1(VALU_DEP_1)
	v_dual_lshlrev_b32 v7, v6, v5 :: v_dual_lshlrev_b32 v6, 23, v6
	v_lshrrev_b32_e32 v7, 4, v7
	s_delay_alu instid0(VALU_DEP_1) | instskip(NEXT) | instid1(VALU_DEP_1)
	v_dual_sub_nc_u32 v6, v7, v6 :: v_dual_ashrrev_i32 v7, 8, v8
	v_add_nc_u32_e32 v6, 0x3c000000, v6
	s_delay_alu instid0(VALU_DEP_1) | instskip(NEXT) | instid1(VALU_DEP_1)
	v_and_or_b32 v6, 0x7f800000, v7, v6
	v_cndmask_b32_e32 v5, 0, v6, vcc_lo
	s_delay_alu instid0(VALU_DEP_1) | instskip(NEXT) | instid1(VALU_DEP_1)
	v_and_or_b32 v3, 0x80000000, v3, v5
	v_cvt_f64_f32_e32 v[6:7], v3
.LBB7_201:
	s_mov_b32 s27, 0
.LBB7_202:
	s_delay_alu instid0(SALU_CYCLE_1)
	s_and_not1_b32 vcc_lo, exec_lo, s27
	s_cbranch_vccnz .LBB7_204
; %bb.203:
	global_load_u8 v3, v[0:1], off
	s_wait_loadcnt 0x0
	v_lshlrev_b32_e32 v5, 25, v3
	v_lshlrev_b16 v3, 8, v3
	s_delay_alu instid0(VALU_DEP_1) | instskip(NEXT) | instid1(VALU_DEP_3)
	v_and_or_b32 v7, 0x7f00, v3, 0.5
	v_lshrrev_b32_e32 v6, 4, v5
	v_bfe_i32 v3, v3, 0, 16
	s_delay_alu instid0(VALU_DEP_3) | instskip(NEXT) | instid1(VALU_DEP_3)
	v_add_f32_e32 v7, -0.5, v7
	v_or_b32_e32 v6, 0x70000000, v6
	s_delay_alu instid0(VALU_DEP_1) | instskip(SKIP_1) | instid1(VALU_DEP_2)
	v_mul_f32_e32 v6, 0x7800000, v6
	v_cmp_gt_u32_e32 vcc_lo, 0x8000000, v5
	v_cndmask_b32_e32 v5, v6, v7, vcc_lo
	s_delay_alu instid0(VALU_DEP_1) | instskip(NEXT) | instid1(VALU_DEP_1)
	v_and_or_b32 v3, 0x80000000, v3, v5
	v_cvt_f64_f32_e32 v[6:7], v3
.LBB7_204:
	s_mov_b32 s28, 0
	s_mov_b32 s27, -1
.LBB7_205:
	s_and_not1_b32 vcc_lo, exec_lo, s28
	s_cbranch_vccnz .LBB7_218
; %bb.206:
	s_cmp_gt_i32 s0, 14
	s_cbranch_scc0 .LBB7_209
; %bb.207:
	s_cmp_eq_u32 s0, 15
	s_cbranch_scc0 .LBB7_212
; %bb.208:
	global_load_u16 v3, v[0:1], off
	s_mov_b32 s27, -1
	s_mov_b32 s26, 0
	s_wait_loadcnt 0x0
	v_lshlrev_b32_e32 v3, 16, v3
	s_delay_alu instid0(VALU_DEP_1)
	v_cvt_f64_f32_e32 v[6:7], v3
	s_branch .LBB7_213
.LBB7_209:
	s_mov_b32 s28, -1
                                        ; implicit-def: $vgpr6_vgpr7
	s_branch .LBB7_214
.LBB7_210:
	s_or_saveexec_b32 s28, s28
	v_mov_b64_e32 v[6:7], 0x7ff8000020000000
	s_xor_b32 exec_lo, exec_lo, s28
	s_cbranch_execz .LBB7_191
.LBB7_211:
	v_cmp_ne_u16_e32 vcc_lo, 0, v3
	v_mov_b64_e32 v[6:7], 0
	s_and_not1_b32 s27, s27, exec_lo
	s_and_b32 s29, vcc_lo, exec_lo
	s_delay_alu instid0(SALU_CYCLE_1)
	s_or_b32 s27, s27, s29
	s_or_b32 exec_lo, exec_lo, s28
	s_and_saveexec_b32 s28, s27
	s_cbranch_execnz .LBB7_192
	s_branch .LBB7_193
.LBB7_212:
	s_mov_b32 s26, -1
                                        ; implicit-def: $vgpr6_vgpr7
.LBB7_213:
	s_mov_b32 s28, 0
.LBB7_214:
	s_delay_alu instid0(SALU_CYCLE_1)
	s_and_b32 vcc_lo, exec_lo, s28
	s_cbranch_vccz .LBB7_218
; %bb.215:
	s_cmp_eq_u32 s0, 11
	s_cbranch_scc0 .LBB7_217
; %bb.216:
	global_load_u8 v3, v[0:1], off
	v_mov_b32_e32 v6, 0
	s_mov_b32 s26, 0
	s_mov_b32 s27, -1
	s_wait_loadcnt 0x0
	v_cmp_ne_u16_e32 vcc_lo, 0, v3
	v_cndmask_b32_e64 v7, 0, 0x3ff00000, vcc_lo
	s_branch .LBB7_218
.LBB7_217:
	s_mov_b32 s26, -1
                                        ; implicit-def: $vgpr6_vgpr7
.LBB7_218:
	s_branch .LBB7_25
.LBB7_219:
	s_cmp_lt_i32 s0, 5
	s_cbranch_scc1 .LBB7_224
; %bb.220:
	s_cmp_lt_i32 s0, 8
	s_cbranch_scc1 .LBB7_225
; %bb.221:
	;; [unrolled: 3-line block ×3, first 2 shown]
	s_cmp_gt_i32 s0, 9
	s_cbranch_scc0 .LBB7_227
; %bb.223:
	global_load_b64 v[6:7], v[0:1], off
	s_mov_b32 s27, 0
	s_branch .LBB7_228
.LBB7_224:
                                        ; implicit-def: $vgpr6_vgpr7
	s_branch .LBB7_246
.LBB7_225:
	s_mov_b32 s27, -1
                                        ; implicit-def: $vgpr6_vgpr7
	s_branch .LBB7_234
.LBB7_226:
	s_mov_b32 s27, -1
                                        ; implicit-def: $vgpr6_vgpr7
	s_branch .LBB7_231
.LBB7_227:
	s_mov_b32 s27, -1
                                        ; implicit-def: $vgpr6_vgpr7
.LBB7_228:
	s_delay_alu instid0(SALU_CYCLE_1)
	s_and_not1_b32 vcc_lo, exec_lo, s27
	s_cbranch_vccnz .LBB7_230
; %bb.229:
	global_load_b32 v3, v[0:1], off
	s_wait_loadcnt 0x0
	v_cvt_f64_f32_e32 v[6:7], v3
.LBB7_230:
	s_mov_b32 s27, 0
.LBB7_231:
	s_delay_alu instid0(SALU_CYCLE_1)
	s_and_not1_b32 vcc_lo, exec_lo, s27
	s_cbranch_vccnz .LBB7_233
; %bb.232:
	global_load_b32 v3, v[0:1], off
	s_wait_loadcnt 0x0
	v_cvt_f32_f16_e32 v3, v3
	s_delay_alu instid0(VALU_DEP_1)
	v_cvt_f64_f32_e32 v[6:7], v3
.LBB7_233:
	s_mov_b32 s27, 0
.LBB7_234:
	s_delay_alu instid0(SALU_CYCLE_1)
	s_and_not1_b32 vcc_lo, exec_lo, s27
	s_cbranch_vccnz .LBB7_245
; %bb.235:
	s_cmp_lt_i32 s0, 6
	s_cbranch_scc1 .LBB7_238
; %bb.236:
	s_cmp_gt_i32 s0, 6
	s_cbranch_scc0 .LBB7_239
; %bb.237:
	s_wait_loadcnt 0x0
	global_load_b64 v[6:7], v[0:1], off
	s_mov_b32 s27, 0
	s_branch .LBB7_240
.LBB7_238:
	s_mov_b32 s27, -1
                                        ; implicit-def: $vgpr6_vgpr7
	s_branch .LBB7_243
.LBB7_239:
	s_mov_b32 s27, -1
                                        ; implicit-def: $vgpr6_vgpr7
.LBB7_240:
	s_delay_alu instid0(SALU_CYCLE_1)
	s_and_not1_b32 vcc_lo, exec_lo, s27
	s_cbranch_vccnz .LBB7_242
; %bb.241:
	global_load_b32 v3, v[0:1], off
	s_wait_loadcnt 0x0
	v_cvt_f64_f32_e32 v[6:7], v3
.LBB7_242:
	s_mov_b32 s27, 0
.LBB7_243:
	s_delay_alu instid0(SALU_CYCLE_1)
	s_and_not1_b32 vcc_lo, exec_lo, s27
	s_cbranch_vccnz .LBB7_245
; %bb.244:
	global_load_u16 v3, v[0:1], off
	s_wait_loadcnt 0x0
	v_cvt_f32_f16_e32 v3, v3
	s_delay_alu instid0(VALU_DEP_1)
	v_cvt_f64_f32_e32 v[6:7], v3
.LBB7_245:
	s_cbranch_execnz .LBB7_265
.LBB7_246:
	s_cmp_lt_i32 s0, 2
	s_cbranch_scc1 .LBB7_250
; %bb.247:
	s_cmp_lt_i32 s0, 3
	s_cbranch_scc1 .LBB7_251
; %bb.248:
	s_cmp_gt_i32 s0, 3
	s_cbranch_scc0 .LBB7_252
; %bb.249:
	s_wait_loadcnt 0x0
	global_load_b64 v[6:7], v[0:1], off
	s_mov_b32 s27, 0
	s_wait_loadcnt 0x0
	v_cvt_f64_i32_e32 v[8:9], v7
	v_cvt_f64_u32_e32 v[6:7], v6
	s_delay_alu instid0(VALU_DEP_2) | instskip(NEXT) | instid1(VALU_DEP_1)
	v_ldexp_f64 v[8:9], v[8:9], 32
	v_add_f64_e32 v[6:7], v[8:9], v[6:7]
	s_branch .LBB7_253
.LBB7_250:
	s_mov_b32 s27, -1
                                        ; implicit-def: $vgpr6_vgpr7
	s_branch .LBB7_259
.LBB7_251:
	s_mov_b32 s27, -1
                                        ; implicit-def: $vgpr6_vgpr7
	s_branch .LBB7_256
.LBB7_252:
	s_mov_b32 s27, -1
                                        ; implicit-def: $vgpr6_vgpr7
.LBB7_253:
	s_delay_alu instid0(SALU_CYCLE_1)
	s_and_not1_b32 vcc_lo, exec_lo, s27
	s_cbranch_vccnz .LBB7_255
; %bb.254:
	global_load_b32 v3, v[0:1], off
	s_wait_loadcnt 0x0
	v_cvt_f64_i32_e32 v[6:7], v3
.LBB7_255:
	s_mov_b32 s27, 0
.LBB7_256:
	s_delay_alu instid0(SALU_CYCLE_1)
	s_and_not1_b32 vcc_lo, exec_lo, s27
	s_cbranch_vccnz .LBB7_258
; %bb.257:
	global_load_i16 v3, v[0:1], off
	s_wait_loadcnt 0x0
	v_cvt_f64_i32_e32 v[6:7], v3
.LBB7_258:
	s_mov_b32 s27, 0
.LBB7_259:
	s_delay_alu instid0(SALU_CYCLE_1)
	s_and_not1_b32 vcc_lo, exec_lo, s27
	s_cbranch_vccnz .LBB7_265
; %bb.260:
	s_cmp_gt_i32 s0, 0
	s_mov_b32 s0, 0
	s_cbranch_scc0 .LBB7_262
; %bb.261:
	global_load_i8 v3, v[0:1], off
	s_wait_loadcnt 0x0
	v_cvt_f64_i32_e32 v[6:7], v3
	s_branch .LBB7_263
.LBB7_262:
	s_mov_b32 s0, -1
                                        ; implicit-def: $vgpr6_vgpr7
.LBB7_263:
	s_delay_alu instid0(SALU_CYCLE_1)
	s_and_not1_b32 vcc_lo, exec_lo, s0
	s_cbranch_vccnz .LBB7_265
; %bb.264:
	global_load_u8 v0, v[0:1], off
	s_wait_loadcnt 0x0
	v_cvt_f64_u32_e32 v[6:7], v0
.LBB7_265:
	s_branch .LBB7_26
.LBB7_266:
	s_mov_b32 s0, 0
.LBB7_267:
	s_mov_b32 s27, 0
                                        ; implicit-def: $vgpr4
.LBB7_268:
	s_and_b32 s41, s0, exec_lo
	s_and_b32 s42, s26, exec_lo
	s_or_not1_b32 s27, s27, exec_lo
.LBB7_269:
	s_wait_xcnt 0x0
	s_or_b32 exec_lo, exec_lo, s43
	s_mov_b32 s26, 0
	s_mov_b32 s0, 0
                                        ; implicit-def: $vgpr0_vgpr1
                                        ; implicit-def: $vgpr2
                                        ; implicit-def: $vgpr6_vgpr7
	s_and_saveexec_b32 s43, s27
	s_cbranch_execz .LBB7_277
; %bb.270:
	s_mov_b32 s0, -1
	s_mov_b32 s44, s42
	s_mov_b32 s45, s41
	s_mov_b32 s46, exec_lo
	v_cmpx_gt_i32_e64 s38, v4
	s_cbranch_execz .LBB7_550
; %bb.271:
	s_and_not1_b32 vcc_lo, exec_lo, s35
	s_cbranch_vccnz .LBB7_280
; %bb.272:
	s_and_not1_b32 vcc_lo, exec_lo, s40
	s_cbranch_vccnz .LBB7_281
; %bb.273:
	s_add_co_i32 s0, s39, 1
	s_cmp_eq_u32 s33, 2
	s_cbranch_scc1 .LBB7_282
; %bb.274:
	v_dual_mov_b32 v2, 0 :: v_dual_mov_b32 v0, 0
	v_mov_b32_e32 v1, v4
	s_and_b32 s26, s0, 28
	s_mov_b32 s27, 0
	s_mov_b64 s[28:29], s[2:3]
	s_mov_b64 s[30:31], s[24:25]
.LBB7_275:                              ; =>This Inner Loop Header: Depth=1
	s_clause 0x1
	s_load_b256 s[48:55], s[28:29], 0x4
	s_load_b128 s[64:67], s[28:29], 0x24
	s_load_b256 s[56:63], s[30:31], 0x0
	s_add_co_i32 s27, s27, 4
	s_wait_xcnt 0x0
	s_add_nc_u64 s[28:29], s[28:29], 48
	s_cmp_eq_u32 s26, s27
	s_add_nc_u64 s[30:31], s[30:31], 32
	s_wait_kmcnt 0x0
	v_mul_hi_u32 v3, s49, v1
	s_delay_alu instid0(VALU_DEP_1) | instskip(NEXT) | instid1(VALU_DEP_1)
	v_add_nc_u32_e32 v3, v1, v3
	v_lshrrev_b32_e32 v3, s50, v3
	s_delay_alu instid0(VALU_DEP_1) | instskip(NEXT) | instid1(VALU_DEP_1)
	v_mul_hi_u32 v5, s52, v3
	v_add_nc_u32_e32 v5, v3, v5
	s_delay_alu instid0(VALU_DEP_1) | instskip(SKIP_1) | instid1(VALU_DEP_1)
	v_lshrrev_b32_e32 v5, s53, v5
	s_wait_loadcnt 0x0
	v_mul_hi_u32 v6, s55, v5
	s_delay_alu instid0(VALU_DEP_1) | instskip(SKIP_1) | instid1(VALU_DEP_1)
	v_add_nc_u32_e32 v6, v5, v6
	v_mul_lo_u32 v7, v3, s48
	v_sub_nc_u32_e32 v1, v1, v7
	v_mul_lo_u32 v7, v5, s51
	s_delay_alu instid0(VALU_DEP_4) | instskip(NEXT) | instid1(VALU_DEP_3)
	v_lshrrev_b32_e32 v6, s64, v6
	v_mad_u32 v0, v1, s57, v0
	v_mad_u32 v1, v1, s56, v2
	s_delay_alu instid0(VALU_DEP_4) | instskip(NEXT) | instid1(VALU_DEP_4)
	v_sub_nc_u32_e32 v2, v3, v7
	v_mul_hi_u32 v8, s66, v6
	v_mul_lo_u32 v3, v6, s54
	s_delay_alu instid0(VALU_DEP_3) | instskip(SKIP_1) | instid1(VALU_DEP_3)
	v_mad_u32 v0, v2, s59, v0
	v_mad_u32 v2, v2, s58, v1
	v_dual_add_nc_u32 v7, v6, v8 :: v_dual_sub_nc_u32 v3, v5, v3
	s_delay_alu instid0(VALU_DEP_1) | instskip(NEXT) | instid1(VALU_DEP_2)
	v_lshrrev_b32_e32 v1, s67, v7
	v_mad_u32 v0, v3, s61, v0
	s_delay_alu instid0(VALU_DEP_4) | instskip(NEXT) | instid1(VALU_DEP_3)
	v_mad_u32 v2, v3, s60, v2
	v_mul_lo_u32 v5, v1, s65
	s_delay_alu instid0(VALU_DEP_1) | instskip(NEXT) | instid1(VALU_DEP_1)
	v_sub_nc_u32_e32 v3, v6, v5
	v_mad_u32 v0, v3, s63, v0
	s_delay_alu instid0(VALU_DEP_4)
	v_mad_u32 v2, v3, s62, v2
	s_cbranch_scc0 .LBB7_275
; %bb.276:
	s_delay_alu instid0(VALU_DEP_2)
	v_mov_b32_e32 v3, v0
	s_branch .LBB7_283
.LBB7_277:
	s_or_b32 exec_lo, exec_lo, s43
	s_mov_b32 s1, 0
	s_and_saveexec_b32 s6, s42
	s_cbranch_execnz .LBB7_934
.LBB7_278:
	s_or_b32 exec_lo, exec_lo, s6
	s_and_saveexec_b32 s6, s21
	s_delay_alu instid0(SALU_CYCLE_1)
	s_xor_b32 s6, exec_lo, s6
	s_cbranch_execz .LBB7_935
.LBB7_279:
	global_load_u8 v3, v[0:1], off
	s_wait_loadcnt 0x1
	v_mov_b32_e32 v6, 0
	s_or_b32 s0, s0, exec_lo
	s_wait_loadcnt 0x0
	v_cmp_ne_u16_e32 vcc_lo, 0, v3
	v_cndmask_b32_e64 v7, 0, 0x3ff00000, vcc_lo
	s_wait_xcnt 0x0
	s_or_b32 exec_lo, exec_lo, s6
	s_and_saveexec_b32 s6, s26
	s_cbranch_execz .LBB7_981
	s_branch .LBB7_936
.LBB7_280:
                                        ; implicit-def: $vgpr0
                                        ; implicit-def: $vgpr2
	s_and_not1_b32 vcc_lo, exec_lo, s0
	s_cbranch_vccnz .LBB7_290
	s_branch .LBB7_288
.LBB7_281:
	v_dual_mov_b32 v0, 0 :: v_dual_mov_b32 v2, 0
	s_branch .LBB7_287
.LBB7_282:
	v_mov_b64_e32 v[2:3], 0
	v_mov_b32_e32 v1, v4
                                        ; implicit-def: $vgpr0
.LBB7_283:
	s_and_b32 s0, s0, 3
	s_mov_b32 s27, 0
	s_cmp_eq_u32 s0, 0
	s_cbranch_scc1 .LBB7_287
; %bb.284:
	s_lshl_b32 s28, s26, 3
	s_mov_b32 s29, s27
	s_mul_u64 s[30:31], s[26:27], 12
	s_add_nc_u64 s[28:29], s[2:3], s[28:29]
	s_delay_alu instid0(SALU_CYCLE_1)
	s_add_nc_u64 s[26:27], s[28:29], 0xc4
	s_add_nc_u64 s[28:29], s[2:3], s[30:31]
.LBB7_285:                              ; =>This Inner Loop Header: Depth=1
	s_load_b96 s[48:50], s[28:29], 0x4
	s_load_b64 s[30:31], s[26:27], 0x0
	s_add_co_i32 s0, s0, -1
	s_wait_xcnt 0x0
	s_add_nc_u64 s[28:29], s[28:29], 12
	s_cmp_lg_u32 s0, 0
	s_add_nc_u64 s[26:27], s[26:27], 8
	s_wait_kmcnt 0x0
	v_mul_hi_u32 v0, s49, v1
	s_delay_alu instid0(VALU_DEP_1) | instskip(NEXT) | instid1(VALU_DEP_1)
	v_add_nc_u32_e32 v0, v1, v0
	v_lshrrev_b32_e32 v0, s50, v0
	s_delay_alu instid0(VALU_DEP_1) | instskip(NEXT) | instid1(VALU_DEP_1)
	v_mul_lo_u32 v5, v0, s48
	v_sub_nc_u32_e32 v1, v1, v5
	s_delay_alu instid0(VALU_DEP_1)
	v_mad_u32 v3, v1, s31, v3
	v_mad_u32 v2, v1, s30, v2
	v_mov_b32_e32 v1, v0
	s_cbranch_scc1 .LBB7_285
; %bb.286:
	s_delay_alu instid0(VALU_DEP_3)
	v_mov_b32_e32 v0, v3
.LBB7_287:
	s_cbranch_execnz .LBB7_290
.LBB7_288:
	v_mov_b32_e32 v5, 0
	s_and_not1_b32 vcc_lo, exec_lo, s37
	s_delay_alu instid0(VALU_DEP_1) | instskip(NEXT) | instid1(VALU_DEP_1)
	v_mul_u64_e32 v[0:1], s[20:21], v[4:5]
	v_add_nc_u32_e32 v0, v4, v1
	s_wait_loadcnt 0x0
	s_delay_alu instid0(VALU_DEP_1) | instskip(NEXT) | instid1(VALU_DEP_1)
	v_lshrrev_b32_e32 v6, s10, v0
	v_mul_lo_u32 v0, v6, s8
	s_delay_alu instid0(VALU_DEP_1) | instskip(NEXT) | instid1(VALU_DEP_1)
	v_sub_nc_u32_e32 v1, v4, v0
	v_mul_lo_u32 v0, v1, s13
	v_mul_lo_u32 v2, v1, s12
	s_cbranch_vccnz .LBB7_290
; %bb.289:
	v_mov_b32_e32 v7, v5
	s_delay_alu instid0(VALU_DEP_1) | instskip(NEXT) | instid1(VALU_DEP_1)
	v_mul_u64_e32 v[8:9], s[22:23], v[6:7]
	v_add_nc_u32_e32 v1, v6, v9
	s_delay_alu instid0(VALU_DEP_1) | instskip(NEXT) | instid1(VALU_DEP_1)
	v_lshrrev_b32_e32 v1, s1, v1
	v_mul_lo_u32 v1, v1, s11
	s_delay_alu instid0(VALU_DEP_1) | instskip(NEXT) | instid1(VALU_DEP_1)
	v_sub_nc_u32_e32 v1, v6, v1
	v_mad_u32 v2, v1, s14, v2
	v_mad_u32 v0, v1, s15, v0
.LBB7_290:
	v_mov_b32_e32 v1, 0
	s_and_b32 s0, 0xffff, s9
	s_delay_alu instid0(SALU_CYCLE_1) | instskip(NEXT) | instid1(VALU_DEP_1)
	s_cmp_lt_i32 s0, 11
	v_add_nc_u64_e32 v[0:1], s[6:7], v[0:1]
	s_cbranch_scc1 .LBB7_297
; %bb.291:
	s_cmp_gt_i32 s0, 25
	s_cbranch_scc0 .LBB7_308
; %bb.292:
	s_cmp_gt_i32 s0, 28
	s_cbranch_scc0 .LBB7_310
	;; [unrolled: 3-line block ×4, first 2 shown]
; %bb.295:
	s_cmp_eq_u32 s0, 46
	s_mov_b32 s28, 0
	s_cbranch_scc0 .LBB7_320
; %bb.296:
	global_load_b32 v3, v[0:1], off
	s_mov_b32 s27, -1
	s_mov_b32 s26, 0
	s_wait_loadcnt 0x0
	v_lshlrev_b32_e32 v3, 16, v3
	s_delay_alu instid0(VALU_DEP_1)
	v_cvt_f64_f32_e32 v[6:7], v3
	s_branch .LBB7_322
.LBB7_297:
	s_mov_b32 s27, 0
	s_mov_b32 s26, s42
                                        ; implicit-def: $vgpr6_vgpr7
	s_cbranch_execnz .LBB7_499
.LBB7_298:
	s_and_not1_b32 vcc_lo, exec_lo, s27
	s_cbranch_vccnz .LBB7_547
.LBB7_299:
	s_wait_xcnt 0x0
	v_mov_b64_e32 v[0:1], 1.0
	s_mov_b32 s0, exec_lo
	s_wait_loadcnt 0x0
	s_delay_alu instid0(VALU_DEP_2)
	v_cmpx_lt_f64_e32 s[16:17], v[6:7]
	s_cbranch_execz .LBB7_301
; %bb.300:
	v_add_f64_e32 v[0:1], 0x3e7ad7f29abcaf48, v[6:7]
	s_delay_alu instid0(VALU_DEP_1) | instskip(NEXT) | instid1(VALU_DEP_1)
	v_div_scale_f64 v[6:7], null, v[0:1], v[0:1], s[16:17]
	v_rcp_f64_e32 v[8:9], v[6:7]
	v_nop
	s_delay_alu instid0(TRANS32_DEP_1) | instskip(NEXT) | instid1(VALU_DEP_1)
	v_fma_f64 v[10:11], -v[6:7], v[8:9], 1.0
	v_fmac_f64_e32 v[8:9], v[8:9], v[10:11]
	s_delay_alu instid0(VALU_DEP_1) | instskip(NEXT) | instid1(VALU_DEP_1)
	v_fma_f64 v[10:11], -v[6:7], v[8:9], 1.0
	v_fmac_f64_e32 v[8:9], v[8:9], v[10:11]
	v_div_scale_f64 v[10:11], vcc_lo, s[16:17], v[0:1], s[16:17]
	s_delay_alu instid0(VALU_DEP_1) | instskip(NEXT) | instid1(VALU_DEP_1)
	v_mul_f64_e32 v[12:13], v[10:11], v[8:9]
	v_fma_f64 v[6:7], -v[6:7], v[12:13], v[10:11]
	s_delay_alu instid0(VALU_DEP_1) | instskip(NEXT) | instid1(VALU_DEP_1)
	v_div_fmas_f64 v[6:7], v[6:7], v[8:9], v[12:13]
	v_div_fixup_f64 v[0:1], v[6:7], v[0:1], s[16:17]
.LBB7_301:
	s_or_b32 exec_lo, exec_lo, s0
	v_mov_b32_e32 v3, 0
	s_and_b32 s27, s18, 0xff
	s_delay_alu instid0(SALU_CYCLE_1) | instskip(NEXT) | instid1(VALU_DEP_1)
	s_cmp_lt_i32 s27, 11
	v_add_nc_u64_e32 v[6:7], s[4:5], v[2:3]
	s_cbranch_scc1 .LBB7_309
; %bb.302:
	s_and_b32 s28, 0xffff, s27
	s_delay_alu instid0(SALU_CYCLE_1)
	s_cmp_gt_i32 s28, 25
	s_cbranch_scc0 .LBB7_311
; %bb.303:
	s_cmp_gt_i32 s28, 28
	s_cbranch_scc0 .LBB7_313
; %bb.304:
	;; [unrolled: 3-line block ×4, first 2 shown]
	s_mov_b32 s30, 0
	s_mov_b32 s0, -1
	s_cmp_eq_u32 s28, 46
	s_mov_b32 s29, 0
	s_cbranch_scc0 .LBB7_326
; %bb.307:
	s_delay_alu instid0(VALU_DEP_3) | instskip(SKIP_2) | instid1(VALU_DEP_1)
	v_cvt_f32_f64_e32 v2, v[0:1]
	s_mov_b32 s29, -1
	s_mov_b32 s0, 0
	v_bfe_u32 v3, v2, 16, 1
	v_cmp_o_f32_e32 vcc_lo, v2, v2
	s_delay_alu instid0(VALU_DEP_2) | instskip(NEXT) | instid1(VALU_DEP_1)
	v_add3_u32 v3, v2, v3, 0x7fff
	v_lshrrev_b32_e32 v3, 16, v3
	s_delay_alu instid0(VALU_DEP_1)
	v_cndmask_b32_e32 v2, 0x7fc0, v3, vcc_lo
	global_store_b32 v[6:7], v2, off
	s_branch .LBB7_326
.LBB7_308:
	s_mov_b32 s28, -1
	s_mov_b32 s27, 0
	s_mov_b32 s26, s42
                                        ; implicit-def: $vgpr6_vgpr7
	s_branch .LBB7_463
.LBB7_309:
	s_mov_b32 s28, -1
	s_mov_b32 s29, 0
	s_mov_b32 s0, s41
	s_branch .LBB7_395
.LBB7_310:
	s_mov_b32 s28, -1
	s_mov_b32 s27, 0
	s_mov_b32 s26, s42
                                        ; implicit-def: $vgpr6_vgpr7
	s_branch .LBB7_444
.LBB7_311:
	s_mov_b32 s30, -1
	s_mov_b32 s29, 0
	s_mov_b32 s0, s41
	s_branch .LBB7_353
.LBB7_312:
	s_mov_b32 s28, -1
	s_mov_b32 s27, 0
	s_mov_b32 s26, s42
                                        ; implicit-def: $vgpr6_vgpr7
	s_branch .LBB7_439
.LBB7_313:
	s_mov_b32 s30, -1
	s_mov_b32 s29, 0
	s_mov_b32 s0, s41
	s_branch .LBB7_336
.LBB7_314:
	s_and_not1_saveexec_b32 s31, s31
	s_cbranch_execz .LBB7_71
.LBB7_315:
	v_add_f32_e64 v3, 0x46000000, |v2|
	s_and_not1_b32 s30, s30, exec_lo
	s_delay_alu instid0(VALU_DEP_1) | instskip(NEXT) | instid1(VALU_DEP_1)
	v_and_b32_e32 v3, 0xff, v3
	v_cmp_ne_u32_e32 vcc_lo, 0, v3
	s_and_b32 s41, vcc_lo, exec_lo
	s_delay_alu instid0(SALU_CYCLE_1)
	s_or_b32 s30, s30, s41
	s_or_b32 exec_lo, exec_lo, s31
	v_mov_b32_e32 v5, 0
	s_and_saveexec_b32 s31, s30
	s_cbranch_execnz .LBB7_72
	s_branch .LBB7_73
.LBB7_316:
	s_mov_b32 s28, -1
	s_mov_b32 s27, 0
	s_mov_b32 s26, s42
	s_branch .LBB7_321
.LBB7_317:
	s_mov_b32 s30, -1
	s_mov_b32 s29, 0
	s_mov_b32 s0, s41
	s_branch .LBB7_332
.LBB7_318:
	s_and_not1_saveexec_b32 s31, s31
	s_cbranch_execz .LBB7_84
.LBB7_319:
	v_add_f32_e64 v3, 0x42800000, |v2|
	s_and_not1_b32 s30, s30, exec_lo
	s_delay_alu instid0(VALU_DEP_1) | instskip(NEXT) | instid1(VALU_DEP_1)
	v_and_b32_e32 v3, 0xff, v3
	v_cmp_ne_u32_e32 vcc_lo, 0, v3
	s_and_b32 s41, vcc_lo, exec_lo
	s_delay_alu instid0(SALU_CYCLE_1)
	s_or_b32 s30, s30, s41
	s_or_b32 exec_lo, exec_lo, s31
	v_mov_b32_e32 v5, 0
	s_and_saveexec_b32 s31, s30
	s_cbranch_execnz .LBB7_85
	s_branch .LBB7_86
.LBB7_320:
	s_mov_b32 s26, -1
	s_mov_b32 s27, 0
.LBB7_321:
                                        ; implicit-def: $vgpr6_vgpr7
.LBB7_322:
	s_and_b32 vcc_lo, exec_lo, s28
	s_cbranch_vccz .LBB7_438
; %bb.323:
	s_cmp_eq_u32 s0, 44
	s_cbranch_scc0 .LBB7_437
; %bb.324:
	global_load_u8 v3, v[0:1], off
	s_mov_b32 s26, 0
	s_mov_b32 s27, -1
	s_wait_loadcnt 0x0
	v_lshlrev_b32_e32 v5, 23, v3
	v_cmp_ne_u32_e32 vcc_lo, 0xff, v3
	s_delay_alu instid0(VALU_DEP_2) | instskip(NEXT) | instid1(VALU_DEP_1)
	v_cvt_f64_f32_e32 v[6:7], v5
	v_cndmask_b32_e32 v5, 0x20000000, v6, vcc_lo
	s_delay_alu instid0(VALU_DEP_2) | instskip(SKIP_1) | instid1(VALU_DEP_2)
	v_cndmask_b32_e32 v6, 0x7ff80000, v7, vcc_lo
	v_cmp_ne_u32_e32 vcc_lo, 0, v3
	v_cndmask_b32_e32 v7, 0x38000000, v6, vcc_lo
	s_delay_alu instid0(VALU_DEP_4)
	v_cndmask_b32_e32 v6, 0, v5, vcc_lo
	s_branch .LBB7_438
.LBB7_325:
	s_mov_b32 s30, -1
	s_mov_b32 s29, 0
	s_mov_b32 s0, s41
.LBB7_326:
	s_and_b32 vcc_lo, exec_lo, s30
	s_cbranch_vccz .LBB7_331
; %bb.327:
	s_cmp_eq_u32 s28, 44
	s_mov_b32 s0, -1
	s_cbranch_scc0 .LBB7_331
; %bb.328:
	s_wait_xcnt 0x0
	s_delay_alu instid0(VALU_DEP_3) | instskip(SKIP_2) | instid1(VALU_DEP_2)
	v_cvt_f32_f64_e32 v2, v[0:1]
	v_mov_b32_e32 v3, 0xff
	s_mov_b32 s29, exec_lo
	v_bfe_u32 v5, v2, 23, 8
	s_delay_alu instid0(VALU_DEP_1)
	v_cmpx_ne_u32_e32 0xff, v5
	s_cbranch_execz .LBB7_330
; %bb.329:
	v_and_b32_e32 v3, 0x400000, v2
	v_and_or_b32 v5, 0x3fffff, v2, v5
	v_lshrrev_b32_e32 v2, 23, v2
	s_delay_alu instid0(VALU_DEP_3) | instskip(NEXT) | instid1(VALU_DEP_3)
	v_cmp_ne_u32_e32 vcc_lo, 0, v3
	v_cmp_ne_u32_e64 s0, 0, v5
	s_and_b32 s0, vcc_lo, s0
	s_delay_alu instid0(SALU_CYCLE_1) | instskip(NEXT) | instid1(VALU_DEP_1)
	v_cndmask_b32_e64 v3, 0, 1, s0
	v_add_nc_u32_e32 v3, v2, v3
.LBB7_330:
	s_or_b32 exec_lo, exec_lo, s29
	s_mov_b32 s29, -1
	s_mov_b32 s0, 0
	global_store_b8 v[6:7], v3, off
.LBB7_331:
	s_mov_b32 s30, 0
.LBB7_332:
	s_delay_alu instid0(SALU_CYCLE_1)
	s_and_b32 vcc_lo, exec_lo, s30
	s_cbranch_vccz .LBB7_335
; %bb.333:
	s_cmp_eq_u32 s28, 29
	s_mov_b32 s0, -1
	s_cbranch_scc0 .LBB7_335
; %bb.334:
	s_wait_xcnt 0x0
	s_delay_alu instid0(VALU_DEP_3) | instskip(SKIP_3) | instid1(VALU_DEP_1)
	v_trunc_f64_e32 v[2:3], v[0:1]
	s_mov_b32 s29, -1
	s_mov_b32 s0, 0
	s_mov_b32 s30, 0
	v_ldexp_f64 v[8:9], v[2:3], 0xffffffe0
	s_delay_alu instid0(VALU_DEP_1) | instskip(NEXT) | instid1(VALU_DEP_1)
	v_floor_f64_e32 v[8:9], v[8:9]
	v_fmamk_f64 v[2:3], v[8:9], 0xc1f00000, v[2:3]
	v_cvt_u32_f64_e32 v9, v[8:9]
	s_delay_alu instid0(VALU_DEP_2)
	v_cvt_u32_f64_e32 v8, v[2:3]
	global_store_b64 v[6:7], v[8:9], off
	s_branch .LBB7_336
.LBB7_335:
	s_mov_b32 s30, 0
.LBB7_336:
	s_delay_alu instid0(SALU_CYCLE_1)
	s_and_b32 vcc_lo, exec_lo, s30
	s_cbranch_vccz .LBB7_352
; %bb.337:
	s_cmp_lt_i32 s28, 27
	s_mov_b32 s29, -1
	s_cbranch_scc1 .LBB7_343
; %bb.338:
	s_wait_xcnt 0x0
	s_delay_alu instid0(VALU_DEP_3)
	v_cvt_u32_f64_e32 v2, v[0:1]
	s_cmp_gt_i32 s28, 27
	s_cbranch_scc0 .LBB7_340
; %bb.339:
	s_mov_b32 s29, 0
	global_store_b32 v[6:7], v2, off
.LBB7_340:
	s_and_not1_b32 vcc_lo, exec_lo, s29
	s_cbranch_vccnz .LBB7_342
; %bb.341:
	global_store_b16 v[6:7], v2, off
.LBB7_342:
	s_mov_b32 s29, 0
.LBB7_343:
	s_delay_alu instid0(SALU_CYCLE_1)
	s_and_not1_b32 vcc_lo, exec_lo, s29
	s_cbranch_vccnz .LBB7_351
; %bb.344:
	s_wait_xcnt 0x0
	s_delay_alu instid0(VALU_DEP_3) | instskip(SKIP_2) | instid1(VALU_DEP_2)
	v_cvt_f32_f64_e32 v2, v[0:1]
	v_mov_b32_e32 v5, 0x80
	s_mov_b32 s29, exec_lo
	v_and_b32_e32 v3, 0x7fffffff, v2
	s_delay_alu instid0(VALU_DEP_1)
	v_cmpx_gt_u32_e32 0x43800000, v3
	s_cbranch_execz .LBB7_350
; %bb.345:
	v_cmp_lt_u32_e32 vcc_lo, 0x3bffffff, v3
	s_mov_b32 s30, 0
                                        ; implicit-def: $vgpr3
	s_and_saveexec_b32 s31, vcc_lo
	s_delay_alu instid0(SALU_CYCLE_1)
	s_xor_b32 s31, exec_lo, s31
	s_cbranch_execz .LBB7_580
; %bb.346:
	v_bfe_u32 v3, v2, 20, 1
	s_mov_b32 s30, exec_lo
	s_delay_alu instid0(VALU_DEP_1) | instskip(NEXT) | instid1(VALU_DEP_1)
	v_add3_u32 v3, v2, v3, 0x487ffff
	v_lshrrev_b32_e32 v3, 20, v3
	s_and_not1_saveexec_b32 s31, s31
	s_cbranch_execnz .LBB7_581
.LBB7_347:
	s_or_b32 exec_lo, exec_lo, s31
	v_mov_b32_e32 v5, 0
	s_and_saveexec_b32 s31, s30
.LBB7_348:
	v_lshrrev_b32_e32 v2, 24, v2
	s_delay_alu instid0(VALU_DEP_1)
	v_and_or_b32 v5, 0x80, v2, v3
.LBB7_349:
	s_or_b32 exec_lo, exec_lo, s31
.LBB7_350:
	s_delay_alu instid0(SALU_CYCLE_1)
	s_or_b32 exec_lo, exec_lo, s29
	global_store_b8 v[6:7], v5, off
.LBB7_351:
	s_mov_b32 s29, -1
.LBB7_352:
	s_mov_b32 s30, 0
.LBB7_353:
	s_delay_alu instid0(SALU_CYCLE_1)
	s_and_b32 vcc_lo, exec_lo, s30
	s_cbranch_vccz .LBB7_394
; %bb.354:
	s_cmp_gt_i32 s28, 22
	s_mov_b32 s30, -1
	s_cbranch_scc0 .LBB7_386
; %bb.355:
	s_cmp_lt_i32 s28, 24
	s_mov_b32 s29, -1
	s_cbranch_scc1 .LBB7_375
; %bb.356:
	s_cmp_gt_i32 s28, 24
	s_cbranch_scc0 .LBB7_364
; %bb.357:
	s_wait_xcnt 0x0
	s_delay_alu instid0(VALU_DEP_3) | instskip(SKIP_2) | instid1(VALU_DEP_2)
	v_cvt_f32_f64_e32 v2, v[0:1]
	v_mov_b32_e32 v5, 0x80
	s_mov_b32 s29, exec_lo
	v_and_b32_e32 v3, 0x7fffffff, v2
	s_delay_alu instid0(VALU_DEP_1)
	v_cmpx_gt_u32_e32 0x47800000, v3
	s_cbranch_execz .LBB7_363
; %bb.358:
	v_cmp_lt_u32_e32 vcc_lo, 0x37ffffff, v3
	s_mov_b32 s30, 0
                                        ; implicit-def: $vgpr3
	s_and_saveexec_b32 s31, vcc_lo
	s_delay_alu instid0(SALU_CYCLE_1)
	s_xor_b32 s31, exec_lo, s31
	s_cbranch_execz .LBB7_583
; %bb.359:
	v_bfe_u32 v3, v2, 21, 1
	s_mov_b32 s30, exec_lo
	s_delay_alu instid0(VALU_DEP_1) | instskip(NEXT) | instid1(VALU_DEP_1)
	v_add3_u32 v3, v2, v3, 0x88fffff
	v_lshrrev_b32_e32 v3, 21, v3
	s_and_not1_saveexec_b32 s31, s31
	s_cbranch_execnz .LBB7_584
.LBB7_360:
	s_or_b32 exec_lo, exec_lo, s31
	v_mov_b32_e32 v5, 0
	s_and_saveexec_b32 s31, s30
.LBB7_361:
	v_lshrrev_b32_e32 v2, 24, v2
	s_delay_alu instid0(VALU_DEP_1)
	v_and_or_b32 v5, 0x80, v2, v3
.LBB7_362:
	s_or_b32 exec_lo, exec_lo, s31
.LBB7_363:
	s_delay_alu instid0(SALU_CYCLE_1)
	s_or_b32 exec_lo, exec_lo, s29
	s_mov_b32 s29, 0
	global_store_b8 v[6:7], v5, off
.LBB7_364:
	s_and_b32 vcc_lo, exec_lo, s29
	s_cbranch_vccz .LBB7_374
; %bb.365:
	s_wait_xcnt 0x0
	s_delay_alu instid0(VALU_DEP_3) | instskip(SKIP_1) | instid1(VALU_DEP_1)
	v_cvt_f32_f64_e32 v2, v[0:1]
	s_mov_b32 s29, exec_lo
                                        ; implicit-def: $vgpr3
	v_and_b32_e32 v5, 0x7fffffff, v2
	s_delay_alu instid0(VALU_DEP_1)
	v_cmpx_gt_u32_e32 0x43f00000, v5
	s_xor_b32 s29, exec_lo, s29
	s_cbranch_execz .LBB7_371
; %bb.366:
	s_mov_b32 s30, exec_lo
                                        ; implicit-def: $vgpr3
	v_cmpx_lt_u32_e32 0x3c7fffff, v5
	s_xor_b32 s30, exec_lo, s30
; %bb.367:
	v_bfe_u32 v3, v2, 20, 1
	s_delay_alu instid0(VALU_DEP_1) | instskip(NEXT) | instid1(VALU_DEP_1)
	v_add3_u32 v3, v2, v3, 0x407ffff
	v_and_b32_e32 v5, 0xff00000, v3
	v_lshrrev_b32_e32 v3, 20, v3
	s_delay_alu instid0(VALU_DEP_2) | instskip(NEXT) | instid1(VALU_DEP_2)
	v_cmp_ne_u32_e32 vcc_lo, 0x7f00000, v5
	v_cndmask_b32_e32 v3, 0x7e, v3, vcc_lo
; %bb.368:
	s_and_not1_saveexec_b32 s30, s30
; %bb.369:
	v_add_f32_e64 v3, 0x46800000, |v2|
; %bb.370:
	s_or_b32 exec_lo, exec_lo, s30
                                        ; implicit-def: $vgpr5
.LBB7_371:
	s_and_not1_saveexec_b32 s29, s29
; %bb.372:
	v_mov_b32_e32 v3, 0x7f
	v_cmp_lt_u32_e32 vcc_lo, 0x7f800000, v5
	s_delay_alu instid0(VALU_DEP_2)
	v_cndmask_b32_e32 v3, 0x7e, v3, vcc_lo
; %bb.373:
	s_or_b32 exec_lo, exec_lo, s29
	v_lshrrev_b32_e32 v2, 24, v2
	s_delay_alu instid0(VALU_DEP_1)
	v_and_or_b32 v2, 0x80, v2, v3
	global_store_b8 v[6:7], v2, off
.LBB7_374:
	s_mov_b32 s29, 0
.LBB7_375:
	s_delay_alu instid0(SALU_CYCLE_1)
	s_and_not1_b32 vcc_lo, exec_lo, s29
	s_cbranch_vccnz .LBB7_385
; %bb.376:
	s_wait_xcnt 0x0
	s_delay_alu instid0(VALU_DEP_3) | instskip(SKIP_1) | instid1(VALU_DEP_1)
	v_cvt_f32_f64_e32 v2, v[0:1]
	s_mov_b32 s29, exec_lo
                                        ; implicit-def: $vgpr3
	v_and_b32_e32 v5, 0x7fffffff, v2
	s_delay_alu instid0(VALU_DEP_1)
	v_cmpx_gt_u32_e32 0x47800000, v5
	s_xor_b32 s29, exec_lo, s29
	s_cbranch_execz .LBB7_382
; %bb.377:
	s_mov_b32 s30, exec_lo
                                        ; implicit-def: $vgpr3
	v_cmpx_lt_u32_e32 0x387fffff, v5
	s_xor_b32 s30, exec_lo, s30
; %bb.378:
	v_bfe_u32 v3, v2, 21, 1
	s_delay_alu instid0(VALU_DEP_1) | instskip(NEXT) | instid1(VALU_DEP_1)
	v_add3_u32 v3, v2, v3, 0x80fffff
	v_lshrrev_b32_e32 v3, 21, v3
; %bb.379:
	s_and_not1_saveexec_b32 s30, s30
; %bb.380:
	v_add_f32_e64 v3, 0x43000000, |v2|
; %bb.381:
	s_or_b32 exec_lo, exec_lo, s30
                                        ; implicit-def: $vgpr5
.LBB7_382:
	s_and_not1_saveexec_b32 s29, s29
; %bb.383:
	v_mov_b32_e32 v3, 0x7f
	v_cmp_lt_u32_e32 vcc_lo, 0x7f800000, v5
	s_delay_alu instid0(VALU_DEP_2)
	v_cndmask_b32_e32 v3, 0x7c, v3, vcc_lo
; %bb.384:
	s_or_b32 exec_lo, exec_lo, s29
	v_lshrrev_b32_e32 v2, 24, v2
	s_delay_alu instid0(VALU_DEP_1)
	v_and_or_b32 v2, 0x80, v2, v3
	global_store_b8 v[6:7], v2, off
.LBB7_385:
	s_mov_b32 s30, 0
	s_mov_b32 s29, -1
.LBB7_386:
	s_and_not1_b32 vcc_lo, exec_lo, s30
	s_cbranch_vccnz .LBB7_394
; %bb.387:
	s_cmp_gt_i32 s28, 14
	s_mov_b32 s30, -1
	s_cbranch_scc0 .LBB7_391
; %bb.388:
	s_cmp_eq_u32 s28, 15
	s_mov_b32 s0, -1
	s_cbranch_scc0 .LBB7_390
; %bb.389:
	s_wait_xcnt 0x0
	s_delay_alu instid0(VALU_DEP_3) | instskip(SKIP_2) | instid1(VALU_DEP_1)
	v_cvt_f32_f64_e32 v2, v[0:1]
	s_mov_b32 s29, -1
	s_mov_b32 s0, 0
	v_bfe_u32 v3, v2, 16, 1
	v_cmp_o_f32_e32 vcc_lo, v2, v2
	s_delay_alu instid0(VALU_DEP_2) | instskip(NEXT) | instid1(VALU_DEP_1)
	v_add3_u32 v3, v2, v3, 0x7fff
	v_lshrrev_b32_e32 v3, 16, v3
	s_delay_alu instid0(VALU_DEP_1)
	v_cndmask_b32_e32 v2, 0x7fc0, v3, vcc_lo
	global_store_b16 v[6:7], v2, off
.LBB7_390:
	s_mov_b32 s30, 0
.LBB7_391:
	s_delay_alu instid0(SALU_CYCLE_1)
	s_and_b32 vcc_lo, exec_lo, s30
	s_cbranch_vccz .LBB7_394
; %bb.392:
	s_cmp_eq_u32 s28, 11
	s_mov_b32 s0, -1
	s_cbranch_scc0 .LBB7_394
; %bb.393:
	s_delay_alu instid0(VALU_DEP_3)
	v_cmp_neq_f64_e32 vcc_lo, 0, v[0:1]
	s_mov_b32 s29, -1
	s_mov_b32 s0, 0
	s_wait_xcnt 0x0
	v_cndmask_b32_e64 v2, 0, 1, vcc_lo
	global_store_b8 v[6:7], v2, off
.LBB7_394:
	s_mov_b32 s28, 0
.LBB7_395:
	s_delay_alu instid0(SALU_CYCLE_1)
	s_and_b32 vcc_lo, exec_lo, s28
	s_cbranch_vccz .LBB7_434
; %bb.396:
	s_and_b32 s27, 0xffff, s27
	s_mov_b32 s28, -1
	s_cmp_lt_i32 s27, 5
	s_cbranch_scc1 .LBB7_417
; %bb.397:
	s_cmp_lt_i32 s27, 8
	s_cbranch_scc1 .LBB7_407
; %bb.398:
	;; [unrolled: 3-line block ×3, first 2 shown]
	s_cmp_gt_i32 s27, 9
	s_cbranch_scc0 .LBB7_401
; %bb.400:
	s_wait_xcnt 0x0
	v_mov_b32_e32 v2, 0
	s_mov_b32 s28, 0
	s_delay_alu instid0(VALU_DEP_1)
	v_mov_b32_e32 v3, v2
	global_store_b128 v[6:7], v[0:3], off
.LBB7_401:
	s_and_not1_b32 vcc_lo, exec_lo, s28
	s_cbranch_vccnz .LBB7_403
; %bb.402:
	s_wait_xcnt 0x0
	s_delay_alu instid0(VALU_DEP_3)
	v_cvt_f32_f64_e32 v2, v[0:1]
	v_mov_b32_e32 v3, 0
	global_store_b64 v[6:7], v[2:3], off
.LBB7_403:
	s_mov_b32 s28, 0
.LBB7_404:
	s_delay_alu instid0(SALU_CYCLE_1)
	s_and_not1_b32 vcc_lo, exec_lo, s28
	s_cbranch_vccnz .LBB7_406
; %bb.405:
	s_wait_xcnt 0x0
	s_delay_alu instid0(VALU_DEP_3) | instskip(SKIP_2) | instid1(VALU_DEP_3)
	v_and_or_b32 v2, 0x1ff, v1, v0
	v_lshrrev_b32_e32 v3, 8, v1
	v_bfe_u32 v5, v1, 20, 11
	v_cmp_ne_u32_e32 vcc_lo, 0, v2
	s_delay_alu instid0(VALU_DEP_2) | instskip(SKIP_2) | instid1(VALU_DEP_1)
	v_sub_nc_u32_e32 v8, 0x3f1, v5
	v_add_nc_u32_e32 v5, 0xfffffc10, v5
	v_cndmask_b32_e64 v2, 0, 1, vcc_lo
	v_and_or_b32 v2, 0xffe, v3, v2
	s_delay_alu instid0(VALU_DEP_4) | instskip(NEXT) | instid1(VALU_DEP_2)
	v_med3_i32 v3, v8, 0, 13
	v_or_b32_e32 v8, 0x1000, v2
	s_delay_alu instid0(VALU_DEP_1) | instskip(NEXT) | instid1(VALU_DEP_1)
	v_lshrrev_b32_e32 v9, v3, v8
	v_lshlrev_b32_e32 v3, v3, v9
	s_delay_alu instid0(VALU_DEP_1) | instskip(SKIP_3) | instid1(VALU_DEP_2)
	v_cmp_ne_u32_e32 vcc_lo, v3, v8
	v_lshl_or_b32 v8, v5, 12, v2
	v_cndmask_b32_e64 v3, 0, 1, vcc_lo
	v_cmp_gt_i32_e32 vcc_lo, 1, v5
	v_or_b32_e32 v3, v9, v3
	s_delay_alu instid0(VALU_DEP_1) | instskip(NEXT) | instid1(VALU_DEP_1)
	v_cndmask_b32_e32 v3, v8, v3, vcc_lo
	v_dual_lshrrev_b32 v3, 2, v3 :: v_dual_bitop2_b32 v8, 7, v3 bitop3:0x40
	s_delay_alu instid0(VALU_DEP_1) | instskip(SKIP_4) | instid1(VALU_DEP_2)
	v_cmp_lt_i32_e32 vcc_lo, 5, v8
	v_cndmask_b32_e64 v9, 0, 1, vcc_lo
	v_cmp_eq_u32_e32 vcc_lo, 3, v8
	v_cndmask_b32_e64 v8, 0, 1, vcc_lo
	v_cmp_ne_u32_e32 vcc_lo, 0, v2
	v_or_b32_e32 v8, v8, v9
	v_mov_b32_e32 v9, 0x7e00
	s_delay_alu instid0(VALU_DEP_1) | instskip(SKIP_1) | instid1(VALU_DEP_2)
	v_dual_cndmask_b32 v2, 0x7c00, v9 :: v_dual_add_nc_u32 v3, v3, v8
	v_cmp_gt_i32_e32 vcc_lo, 31, v5
	v_dual_cndmask_b32 v3, 0x7c00, v3 :: v_dual_lshrrev_b32 v8, 16, v1
	v_cmp_eq_u32_e32 vcc_lo, 0x40f, v5
	s_delay_alu instid0(VALU_DEP_2) | instskip(NEXT) | instid1(VALU_DEP_3)
	v_cndmask_b32_e32 v2, v3, v2, vcc_lo
	v_and_b32_e32 v3, 0x8000, v8
	s_delay_alu instid0(VALU_DEP_1)
	v_bitop3_b32 v2, v3, 0xffff, v2 bitop3:0xc8
	global_store_b32 v[6:7], v2, off
.LBB7_406:
	s_mov_b32 s28, 0
.LBB7_407:
	s_delay_alu instid0(SALU_CYCLE_1)
	s_and_not1_b32 vcc_lo, exec_lo, s28
	s_cbranch_vccnz .LBB7_416
; %bb.408:
	s_cmp_lt_i32 s27, 6
	s_mov_b32 s28, -1
	s_cbranch_scc1 .LBB7_414
; %bb.409:
	s_cmp_gt_i32 s27, 6
	s_cbranch_scc0 .LBB7_411
; %bb.410:
	s_mov_b32 s28, 0
	global_store_b64 v[6:7], v[0:1], off
.LBB7_411:
	s_and_not1_b32 vcc_lo, exec_lo, s28
	s_cbranch_vccnz .LBB7_413
; %bb.412:
	s_wait_xcnt 0x0
	s_delay_alu instid0(VALU_DEP_3)
	v_cvt_f32_f64_e32 v2, v[0:1]
	global_store_b32 v[6:7], v2, off
.LBB7_413:
	s_mov_b32 s28, 0
.LBB7_414:
	s_delay_alu instid0(SALU_CYCLE_1)
	s_and_not1_b32 vcc_lo, exec_lo, s28
	s_cbranch_vccnz .LBB7_416
; %bb.415:
	s_wait_xcnt 0x0
	s_delay_alu instid0(VALU_DEP_3) | instskip(SKIP_2) | instid1(VALU_DEP_3)
	v_and_or_b32 v2, 0x1ff, v1, v0
	v_lshrrev_b32_e32 v3, 8, v1
	v_bfe_u32 v5, v1, 20, 11
	v_cmp_ne_u32_e32 vcc_lo, 0, v2
	s_delay_alu instid0(VALU_DEP_2) | instskip(SKIP_2) | instid1(VALU_DEP_1)
	v_sub_nc_u32_e32 v8, 0x3f1, v5
	v_add_nc_u32_e32 v5, 0xfffffc10, v5
	v_cndmask_b32_e64 v2, 0, 1, vcc_lo
	v_and_or_b32 v2, 0xffe, v3, v2
	s_delay_alu instid0(VALU_DEP_4) | instskip(NEXT) | instid1(VALU_DEP_2)
	v_med3_i32 v3, v8, 0, 13
	v_or_b32_e32 v8, 0x1000, v2
	s_delay_alu instid0(VALU_DEP_1) | instskip(NEXT) | instid1(VALU_DEP_1)
	v_lshrrev_b32_e32 v9, v3, v8
	v_lshlrev_b32_e32 v3, v3, v9
	s_delay_alu instid0(VALU_DEP_1) | instskip(SKIP_3) | instid1(VALU_DEP_2)
	v_cmp_ne_u32_e32 vcc_lo, v3, v8
	v_lshl_or_b32 v8, v5, 12, v2
	v_cndmask_b32_e64 v3, 0, 1, vcc_lo
	v_cmp_gt_i32_e32 vcc_lo, 1, v5
	v_or_b32_e32 v3, v9, v3
	s_delay_alu instid0(VALU_DEP_1) | instskip(NEXT) | instid1(VALU_DEP_1)
	v_cndmask_b32_e32 v3, v8, v3, vcc_lo
	v_dual_lshrrev_b32 v3, 2, v3 :: v_dual_bitop2_b32 v8, 7, v3 bitop3:0x40
	s_delay_alu instid0(VALU_DEP_1) | instskip(SKIP_4) | instid1(VALU_DEP_2)
	v_cmp_lt_i32_e32 vcc_lo, 5, v8
	v_cndmask_b32_e64 v9, 0, 1, vcc_lo
	v_cmp_eq_u32_e32 vcc_lo, 3, v8
	v_cndmask_b32_e64 v8, 0, 1, vcc_lo
	v_cmp_ne_u32_e32 vcc_lo, 0, v2
	v_or_b32_e32 v8, v8, v9
	v_mov_b32_e32 v9, 0x7e00
	s_delay_alu instid0(VALU_DEP_1) | instskip(SKIP_1) | instid1(VALU_DEP_2)
	v_dual_cndmask_b32 v2, 0x7c00, v9 :: v_dual_add_nc_u32 v3, v3, v8
	v_cmp_gt_i32_e32 vcc_lo, 31, v5
	v_cndmask_b32_e32 v3, 0x7c00, v3, vcc_lo
	v_cmp_eq_u32_e32 vcc_lo, 0x40f, v5
	s_delay_alu instid0(VALU_DEP_2) | instskip(NEXT) | instid1(VALU_DEP_1)
	v_dual_cndmask_b32 v2, v3, v2 :: v_dual_lshrrev_b32 v3, 16, v1
	v_and_or_b32 v2, 0x8000, v3, v2
	global_store_b16 v[6:7], v2, off
.LBB7_416:
	s_mov_b32 s28, 0
.LBB7_417:
	s_delay_alu instid0(SALU_CYCLE_1)
	s_and_not1_b32 vcc_lo, exec_lo, s28
	s_cbranch_vccnz .LBB7_433
; %bb.418:
	s_cmp_lt_i32 s27, 2
	s_mov_b32 s28, -1
	s_cbranch_scc1 .LBB7_428
; %bb.419:
	s_cmp_lt_i32 s27, 3
	s_cbranch_scc1 .LBB7_425
; %bb.420:
	s_cmp_gt_i32 s27, 3
	s_cbranch_scc0 .LBB7_422
; %bb.421:
	s_wait_xcnt 0x0
	s_delay_alu instid0(VALU_DEP_3) | instskip(SKIP_1) | instid1(VALU_DEP_1)
	v_trunc_f64_e32 v[2:3], v[0:1]
	s_mov_b32 s28, 0
	v_ldexp_f64 v[8:9], v[2:3], 0xffffffe0
	s_delay_alu instid0(VALU_DEP_1) | instskip(NEXT) | instid1(VALU_DEP_1)
	v_floor_f64_e32 v[8:9], v[8:9]
	v_fmamk_f64 v[2:3], v[8:9], 0xc1f00000, v[2:3]
	v_cvt_i32_f64_e32 v9, v[8:9]
	s_delay_alu instid0(VALU_DEP_2)
	v_cvt_u32_f64_e32 v8, v[2:3]
	global_store_b64 v[6:7], v[8:9], off
.LBB7_422:
	s_and_not1_b32 vcc_lo, exec_lo, s28
	s_cbranch_vccnz .LBB7_424
; %bb.423:
	s_wait_xcnt 0x0
	s_delay_alu instid0(VALU_DEP_3)
	v_cvt_i32_f64_e32 v2, v[0:1]
	global_store_b32 v[6:7], v2, off
.LBB7_424:
	s_mov_b32 s28, 0
.LBB7_425:
	s_delay_alu instid0(SALU_CYCLE_1)
	s_and_not1_b32 vcc_lo, exec_lo, s28
	s_cbranch_vccnz .LBB7_427
; %bb.426:
	s_wait_xcnt 0x0
	s_delay_alu instid0(VALU_DEP_3)
	v_cvt_i32_f64_e32 v2, v[0:1]
	global_store_b16 v[6:7], v2, off
.LBB7_427:
	s_mov_b32 s28, 0
.LBB7_428:
	s_delay_alu instid0(SALU_CYCLE_1)
	s_and_not1_b32 vcc_lo, exec_lo, s28
	s_cbranch_vccnz .LBB7_433
; %bb.429:
	s_cmp_gt_i32 s27, 0
	s_mov_b32 s27, -1
	s_cbranch_scc0 .LBB7_431
; %bb.430:
	s_wait_xcnt 0x0
	s_delay_alu instid0(VALU_DEP_3)
	v_cvt_i32_f64_e32 v2, v[0:1]
	s_mov_b32 s27, 0
	global_store_b8 v[6:7], v2, off
.LBB7_431:
	s_and_not1_b32 vcc_lo, exec_lo, s27
	s_cbranch_vccnz .LBB7_433
; %bb.432:
	s_wait_xcnt 0x0
	s_delay_alu instid0(VALU_DEP_3) | instskip(NEXT) | instid1(VALU_DEP_1)
	v_trunc_f64_e32 v[0:1], v[0:1]
	v_ldexp_f64 v[2:3], v[0:1], 0xffffffe0
	s_delay_alu instid0(VALU_DEP_1) | instskip(NEXT) | instid1(VALU_DEP_1)
	v_floor_f64_e32 v[2:3], v[2:3]
	v_fmamk_f64 v[0:1], v[2:3], 0xc1f00000, v[0:1]
	s_delay_alu instid0(VALU_DEP_1)
	v_cvt_u32_f64_e32 v0, v[0:1]
	global_store_b8 v[6:7], v0, off
.LBB7_433:
	s_mov_b32 s29, -1
.LBB7_434:
	s_delay_alu instid0(SALU_CYCLE_1)
	s_and_not1_b32 vcc_lo, exec_lo, s29
	s_cbranch_vccnz .LBB7_436
; %bb.435:
	v_add_nc_u32_e32 v4, 0x80, v4
	s_mov_b32 s27, -1
	s_branch .LBB7_549
.LBB7_436:
	s_mov_b32 s27, 0
	s_branch .LBB7_548
.LBB7_437:
	s_mov_b32 s26, -1
                                        ; implicit-def: $vgpr6_vgpr7
.LBB7_438:
	s_mov_b32 s28, 0
.LBB7_439:
	s_delay_alu instid0(SALU_CYCLE_1)
	s_and_b32 vcc_lo, exec_lo, s28
	s_cbranch_vccz .LBB7_443
; %bb.440:
	s_cmp_eq_u32 s0, 29
	s_cbranch_scc0 .LBB7_442
; %bb.441:
	s_wait_loadcnt 0x0
	global_load_b64 v[6:7], v[0:1], off
	s_mov_b32 s27, -1
	s_mov_b32 s26, 0
	s_mov_b32 s28, 0
	s_wait_loadcnt 0x0
	v_cvt_f64_u32_e32 v[8:9], v7
	v_cvt_f64_u32_e32 v[6:7], v6
	s_delay_alu instid0(VALU_DEP_2) | instskip(NEXT) | instid1(VALU_DEP_1)
	v_ldexp_f64 v[8:9], v[8:9], 32
	v_add_f64_e32 v[6:7], v[8:9], v[6:7]
	s_branch .LBB7_444
.LBB7_442:
	s_mov_b32 s26, -1
                                        ; implicit-def: $vgpr6_vgpr7
.LBB7_443:
	s_mov_b32 s28, 0
.LBB7_444:
	s_delay_alu instid0(SALU_CYCLE_1)
	s_and_b32 vcc_lo, exec_lo, s28
	s_cbranch_vccz .LBB7_462
; %bb.445:
	s_cmp_lt_i32 s0, 27
	s_cbranch_scc1 .LBB7_448
; %bb.446:
	s_cmp_gt_i32 s0, 27
	s_cbranch_scc0 .LBB7_449
; %bb.447:
	global_load_b32 v3, v[0:1], off
	s_mov_b32 s27, 0
	s_wait_loadcnt 0x0
	v_cvt_f64_u32_e32 v[6:7], v3
	s_branch .LBB7_450
.LBB7_448:
	s_mov_b32 s27, -1
                                        ; implicit-def: $vgpr6_vgpr7
	s_branch .LBB7_453
.LBB7_449:
	s_mov_b32 s27, -1
                                        ; implicit-def: $vgpr6_vgpr7
.LBB7_450:
	s_delay_alu instid0(SALU_CYCLE_1)
	s_and_not1_b32 vcc_lo, exec_lo, s27
	s_cbranch_vccnz .LBB7_452
; %bb.451:
	global_load_u16 v3, v[0:1], off
	s_wait_loadcnt 0x0
	v_cvt_f64_u32_e32 v[6:7], v3
.LBB7_452:
	s_mov_b32 s27, 0
.LBB7_453:
	s_delay_alu instid0(SALU_CYCLE_1)
	s_and_not1_b32 vcc_lo, exec_lo, s27
	s_cbranch_vccnz .LBB7_461
; %bb.454:
	global_load_u8 v3, v[0:1], off
	s_mov_b32 s27, 0
	s_mov_b32 s28, exec_lo
	s_wait_loadcnt 0x0
	v_cmpx_lt_i16_e32 0x7f, v3
	s_xor_b32 s28, exec_lo, s28
	s_cbranch_execz .LBB7_475
; %bb.455:
	s_mov_b32 s27, -1
	s_mov_b32 s29, exec_lo
	v_cmpx_eq_u16_e32 0x80, v3
; %bb.456:
	s_xor_b32 s27, exec_lo, -1
; %bb.457:
	s_or_b32 exec_lo, exec_lo, s29
	s_delay_alu instid0(SALU_CYCLE_1)
	s_and_b32 s27, s27, exec_lo
	s_or_saveexec_b32 s28, s28
	v_mov_b64_e32 v[6:7], 0x7ff8000020000000
	s_xor_b32 exec_lo, exec_lo, s28
	s_cbranch_execnz .LBB7_476
.LBB7_458:
	s_or_b32 exec_lo, exec_lo, s28
	s_and_saveexec_b32 s28, s27
	s_cbranch_execz .LBB7_460
.LBB7_459:
	v_and_b32_e32 v5, 0xffff, v3
	s_delay_alu instid0(VALU_DEP_1) | instskip(SKIP_1) | instid1(VALU_DEP_2)
	v_and_b32_e32 v6, 7, v5
	v_bfe_u32 v9, v5, 3, 4
	v_clz_i32_u32_e32 v7, v6
	s_delay_alu instid0(VALU_DEP_2) | instskip(NEXT) | instid1(VALU_DEP_2)
	v_cmp_eq_u32_e32 vcc_lo, 0, v9
	v_min_u32_e32 v7, 32, v7
	s_delay_alu instid0(VALU_DEP_1) | instskip(NEXT) | instid1(VALU_DEP_1)
	v_subrev_nc_u32_e32 v8, 28, v7
	v_dual_lshlrev_b32 v5, v8, v5 :: v_dual_sub_nc_u32 v7, 29, v7
	s_delay_alu instid0(VALU_DEP_1) | instskip(NEXT) | instid1(VALU_DEP_1)
	v_dual_lshlrev_b32 v3, 24, v3 :: v_dual_bitop2_b32 v5, 7, v5 bitop3:0x40
	v_dual_cndmask_b32 v5, v6, v5, vcc_lo :: v_dual_cndmask_b32 v7, v9, v7, vcc_lo
	s_delay_alu instid0(VALU_DEP_2) | instskip(NEXT) | instid1(VALU_DEP_2)
	v_and_b32_e32 v3, 0x80000000, v3
	v_lshlrev_b32_e32 v5, 20, v5
	s_delay_alu instid0(VALU_DEP_3) | instskip(NEXT) | instid1(VALU_DEP_1)
	v_lshl_add_u32 v6, v7, 23, 0x3b800000
	v_or3_b32 v3, v3, v6, v5
	s_delay_alu instid0(VALU_DEP_1)
	v_cvt_f64_f32_e32 v[6:7], v3
.LBB7_460:
	s_or_b32 exec_lo, exec_lo, s28
.LBB7_461:
	s_mov_b32 s27, -1
.LBB7_462:
	s_mov_b32 s28, 0
.LBB7_463:
	s_delay_alu instid0(SALU_CYCLE_1)
	s_and_b32 vcc_lo, exec_lo, s28
	s_cbranch_vccz .LBB7_498
; %bb.464:
	s_cmp_gt_i32 s0, 22
	s_cbranch_scc0 .LBB7_474
; %bb.465:
	s_cmp_lt_i32 s0, 24
	s_cbranch_scc1 .LBB7_477
; %bb.466:
	s_cmp_gt_i32 s0, 24
	s_cbranch_scc0 .LBB7_478
; %bb.467:
	global_load_u8 v3, v[0:1], off
	s_mov_b32 s27, 0
	s_mov_b32 s28, exec_lo
	s_wait_loadcnt 0x0
	v_cmpx_lt_i16_e32 0x7f, v3
	s_xor_b32 s28, exec_lo, s28
	s_cbranch_execz .LBB7_490
; %bb.468:
	s_mov_b32 s27, -1
	s_mov_b32 s29, exec_lo
	v_cmpx_eq_u16_e32 0x80, v3
; %bb.469:
	s_xor_b32 s27, exec_lo, -1
; %bb.470:
	s_or_b32 exec_lo, exec_lo, s29
	s_delay_alu instid0(SALU_CYCLE_1)
	s_and_b32 s27, s27, exec_lo
	s_or_saveexec_b32 s28, s28
	v_mov_b64_e32 v[6:7], 0x7ff8000020000000
	s_xor_b32 exec_lo, exec_lo, s28
	s_cbranch_execnz .LBB7_491
.LBB7_471:
	s_or_b32 exec_lo, exec_lo, s28
	s_and_saveexec_b32 s28, s27
	s_cbranch_execz .LBB7_473
.LBB7_472:
	v_and_b32_e32 v5, 0xffff, v3
	s_delay_alu instid0(VALU_DEP_1) | instskip(SKIP_1) | instid1(VALU_DEP_2)
	v_and_b32_e32 v6, 3, v5
	v_bfe_u32 v9, v5, 2, 5
	v_clz_i32_u32_e32 v7, v6
	s_delay_alu instid0(VALU_DEP_2) | instskip(NEXT) | instid1(VALU_DEP_2)
	v_cmp_eq_u32_e32 vcc_lo, 0, v9
	v_min_u32_e32 v7, 32, v7
	s_delay_alu instid0(VALU_DEP_1) | instskip(NEXT) | instid1(VALU_DEP_1)
	v_subrev_nc_u32_e32 v8, 29, v7
	v_dual_lshlrev_b32 v5, v8, v5 :: v_dual_sub_nc_u32 v7, 30, v7
	s_delay_alu instid0(VALU_DEP_1) | instskip(NEXT) | instid1(VALU_DEP_1)
	v_dual_lshlrev_b32 v3, 24, v3 :: v_dual_bitop2_b32 v5, 3, v5 bitop3:0x40
	v_dual_cndmask_b32 v5, v6, v5, vcc_lo :: v_dual_cndmask_b32 v7, v9, v7, vcc_lo
	s_delay_alu instid0(VALU_DEP_2) | instskip(NEXT) | instid1(VALU_DEP_2)
	v_and_b32_e32 v3, 0x80000000, v3
	v_lshlrev_b32_e32 v5, 21, v5
	s_delay_alu instid0(VALU_DEP_3) | instskip(NEXT) | instid1(VALU_DEP_1)
	v_lshl_add_u32 v6, v7, 23, 0x37800000
	v_or3_b32 v3, v3, v6, v5
	s_delay_alu instid0(VALU_DEP_1)
	v_cvt_f64_f32_e32 v[6:7], v3
.LBB7_473:
	s_or_b32 exec_lo, exec_lo, s28
	s_mov_b32 s27, 0
	s_branch .LBB7_479
.LBB7_474:
	s_mov_b32 s28, -1
                                        ; implicit-def: $vgpr6_vgpr7
	s_branch .LBB7_485
.LBB7_475:
	s_or_saveexec_b32 s28, s28
	v_mov_b64_e32 v[6:7], 0x7ff8000020000000
	s_xor_b32 exec_lo, exec_lo, s28
	s_cbranch_execz .LBB7_458
.LBB7_476:
	v_cmp_ne_u16_e32 vcc_lo, 0, v3
	v_mov_b64_e32 v[6:7], 0
	s_and_not1_b32 s27, s27, exec_lo
	s_and_b32 s29, vcc_lo, exec_lo
	s_delay_alu instid0(SALU_CYCLE_1)
	s_or_b32 s27, s27, s29
	s_or_b32 exec_lo, exec_lo, s28
	s_and_saveexec_b32 s28, s27
	s_cbranch_execnz .LBB7_459
	s_branch .LBB7_460
.LBB7_477:
	s_mov_b32 s27, -1
                                        ; implicit-def: $vgpr6_vgpr7
	s_branch .LBB7_482
.LBB7_478:
	s_mov_b32 s27, -1
                                        ; implicit-def: $vgpr6_vgpr7
.LBB7_479:
	s_delay_alu instid0(SALU_CYCLE_1)
	s_and_b32 vcc_lo, exec_lo, s27
	s_cbranch_vccz .LBB7_481
; %bb.480:
	global_load_u8 v3, v[0:1], off
	s_wait_loadcnt 0x0
	v_lshlrev_b32_e32 v3, 24, v3
	s_delay_alu instid0(VALU_DEP_1) | instskip(NEXT) | instid1(VALU_DEP_1)
	v_and_b32_e32 v5, 0x7f000000, v3
	v_clz_i32_u32_e32 v6, v5
	v_cmp_ne_u32_e32 vcc_lo, 0, v5
	v_add_nc_u32_e32 v8, 0x1000000, v5
	s_delay_alu instid0(VALU_DEP_3) | instskip(NEXT) | instid1(VALU_DEP_1)
	v_min_u32_e32 v6, 32, v6
	v_sub_nc_u32_e64 v6, v6, 4 clamp
	s_delay_alu instid0(VALU_DEP_1) | instskip(NEXT) | instid1(VALU_DEP_1)
	v_dual_lshlrev_b32 v7, v6, v5 :: v_dual_lshlrev_b32 v6, 23, v6
	v_lshrrev_b32_e32 v7, 4, v7
	s_delay_alu instid0(VALU_DEP_1) | instskip(NEXT) | instid1(VALU_DEP_1)
	v_dual_sub_nc_u32 v6, v7, v6 :: v_dual_ashrrev_i32 v7, 8, v8
	v_add_nc_u32_e32 v6, 0x3c000000, v6
	s_delay_alu instid0(VALU_DEP_1) | instskip(NEXT) | instid1(VALU_DEP_1)
	v_and_or_b32 v6, 0x7f800000, v7, v6
	v_cndmask_b32_e32 v5, 0, v6, vcc_lo
	s_delay_alu instid0(VALU_DEP_1) | instskip(NEXT) | instid1(VALU_DEP_1)
	v_and_or_b32 v3, 0x80000000, v3, v5
	v_cvt_f64_f32_e32 v[6:7], v3
.LBB7_481:
	s_mov_b32 s27, 0
.LBB7_482:
	s_delay_alu instid0(SALU_CYCLE_1)
	s_and_not1_b32 vcc_lo, exec_lo, s27
	s_cbranch_vccnz .LBB7_484
; %bb.483:
	global_load_u8 v3, v[0:1], off
	s_wait_loadcnt 0x0
	v_lshlrev_b32_e32 v5, 25, v3
	v_lshlrev_b16 v3, 8, v3
	s_delay_alu instid0(VALU_DEP_1) | instskip(NEXT) | instid1(VALU_DEP_3)
	v_and_or_b32 v7, 0x7f00, v3, 0.5
	v_lshrrev_b32_e32 v6, 4, v5
	v_bfe_i32 v3, v3, 0, 16
	s_delay_alu instid0(VALU_DEP_3) | instskip(NEXT) | instid1(VALU_DEP_3)
	v_add_f32_e32 v7, -0.5, v7
	v_or_b32_e32 v6, 0x70000000, v6
	s_delay_alu instid0(VALU_DEP_1) | instskip(SKIP_1) | instid1(VALU_DEP_2)
	v_mul_f32_e32 v6, 0x7800000, v6
	v_cmp_gt_u32_e32 vcc_lo, 0x8000000, v5
	v_cndmask_b32_e32 v5, v6, v7, vcc_lo
	s_delay_alu instid0(VALU_DEP_1) | instskip(NEXT) | instid1(VALU_DEP_1)
	v_and_or_b32 v3, 0x80000000, v3, v5
	v_cvt_f64_f32_e32 v[6:7], v3
.LBB7_484:
	s_mov_b32 s28, 0
	s_mov_b32 s27, -1
.LBB7_485:
	s_and_not1_b32 vcc_lo, exec_lo, s28
	s_cbranch_vccnz .LBB7_498
; %bb.486:
	s_cmp_gt_i32 s0, 14
	s_cbranch_scc0 .LBB7_489
; %bb.487:
	s_cmp_eq_u32 s0, 15
	s_cbranch_scc0 .LBB7_492
; %bb.488:
	global_load_u16 v3, v[0:1], off
	s_mov_b32 s27, -1
	s_mov_b32 s26, 0
	s_wait_loadcnt 0x0
	v_lshlrev_b32_e32 v3, 16, v3
	s_delay_alu instid0(VALU_DEP_1)
	v_cvt_f64_f32_e32 v[6:7], v3
	s_branch .LBB7_493
.LBB7_489:
	s_mov_b32 s28, -1
                                        ; implicit-def: $vgpr6_vgpr7
	s_branch .LBB7_494
.LBB7_490:
	s_or_saveexec_b32 s28, s28
	v_mov_b64_e32 v[6:7], 0x7ff8000020000000
	s_xor_b32 exec_lo, exec_lo, s28
	s_cbranch_execz .LBB7_471
.LBB7_491:
	v_cmp_ne_u16_e32 vcc_lo, 0, v3
	v_mov_b64_e32 v[6:7], 0
	s_and_not1_b32 s27, s27, exec_lo
	s_and_b32 s29, vcc_lo, exec_lo
	s_delay_alu instid0(SALU_CYCLE_1)
	s_or_b32 s27, s27, s29
	s_or_b32 exec_lo, exec_lo, s28
	s_and_saveexec_b32 s28, s27
	s_cbranch_execnz .LBB7_472
	s_branch .LBB7_473
.LBB7_492:
	s_mov_b32 s26, -1
                                        ; implicit-def: $vgpr6_vgpr7
.LBB7_493:
	s_mov_b32 s28, 0
.LBB7_494:
	s_delay_alu instid0(SALU_CYCLE_1)
	s_and_b32 vcc_lo, exec_lo, s28
	s_cbranch_vccz .LBB7_498
; %bb.495:
	s_cmp_eq_u32 s0, 11
	s_cbranch_scc0 .LBB7_497
; %bb.496:
	global_load_u8 v3, v[0:1], off
	s_wait_loadcnt 0x1
	v_mov_b32_e32 v6, 0
	s_mov_b32 s26, 0
	s_mov_b32 s27, -1
	s_wait_loadcnt 0x0
	v_cmp_ne_u16_e32 vcc_lo, 0, v3
	v_cndmask_b32_e64 v7, 0, 0x3ff00000, vcc_lo
	s_branch .LBB7_498
.LBB7_497:
	s_mov_b32 s26, -1
                                        ; implicit-def: $vgpr6_vgpr7
.LBB7_498:
	s_branch .LBB7_298
.LBB7_499:
	s_cmp_lt_i32 s0, 5
	s_cbranch_scc1 .LBB7_504
; %bb.500:
	s_cmp_lt_i32 s0, 8
	s_cbranch_scc1 .LBB7_505
; %bb.501:
	;; [unrolled: 3-line block ×3, first 2 shown]
	s_cmp_gt_i32 s0, 9
	s_cbranch_scc0 .LBB7_507
; %bb.503:
	s_wait_loadcnt 0x0
	global_load_b64 v[6:7], v[0:1], off
	s_mov_b32 s27, 0
	s_branch .LBB7_508
.LBB7_504:
	s_mov_b32 s27, -1
                                        ; implicit-def: $vgpr6_vgpr7
	s_branch .LBB7_526
.LBB7_505:
	s_mov_b32 s27, -1
                                        ; implicit-def: $vgpr6_vgpr7
	s_branch .LBB7_514
.LBB7_506:
	s_mov_b32 s27, -1
                                        ; implicit-def: $vgpr6_vgpr7
	s_branch .LBB7_511
.LBB7_507:
	s_mov_b32 s27, -1
                                        ; implicit-def: $vgpr6_vgpr7
.LBB7_508:
	s_delay_alu instid0(SALU_CYCLE_1)
	s_and_not1_b32 vcc_lo, exec_lo, s27
	s_cbranch_vccnz .LBB7_510
; %bb.509:
	global_load_b32 v3, v[0:1], off
	s_wait_loadcnt 0x0
	v_cvt_f64_f32_e32 v[6:7], v3
.LBB7_510:
	s_mov_b32 s27, 0
.LBB7_511:
	s_delay_alu instid0(SALU_CYCLE_1)
	s_and_not1_b32 vcc_lo, exec_lo, s27
	s_cbranch_vccnz .LBB7_513
; %bb.512:
	global_load_b32 v3, v[0:1], off
	s_wait_loadcnt 0x0
	v_cvt_f32_f16_e32 v3, v3
	s_delay_alu instid0(VALU_DEP_1)
	v_cvt_f64_f32_e32 v[6:7], v3
.LBB7_513:
	s_mov_b32 s27, 0
.LBB7_514:
	s_delay_alu instid0(SALU_CYCLE_1)
	s_and_not1_b32 vcc_lo, exec_lo, s27
	s_cbranch_vccnz .LBB7_525
; %bb.515:
	s_cmp_lt_i32 s0, 6
	s_cbranch_scc1 .LBB7_518
; %bb.516:
	s_cmp_gt_i32 s0, 6
	s_cbranch_scc0 .LBB7_519
; %bb.517:
	s_wait_loadcnt 0x0
	global_load_b64 v[6:7], v[0:1], off
	s_mov_b32 s27, 0
	s_branch .LBB7_520
.LBB7_518:
	s_mov_b32 s27, -1
                                        ; implicit-def: $vgpr6_vgpr7
	s_branch .LBB7_523
.LBB7_519:
	s_mov_b32 s27, -1
                                        ; implicit-def: $vgpr6_vgpr7
.LBB7_520:
	s_delay_alu instid0(SALU_CYCLE_1)
	s_and_not1_b32 vcc_lo, exec_lo, s27
	s_cbranch_vccnz .LBB7_522
; %bb.521:
	global_load_b32 v3, v[0:1], off
	s_wait_loadcnt 0x0
	v_cvt_f64_f32_e32 v[6:7], v3
.LBB7_522:
	s_mov_b32 s27, 0
.LBB7_523:
	s_delay_alu instid0(SALU_CYCLE_1)
	s_and_not1_b32 vcc_lo, exec_lo, s27
	s_cbranch_vccnz .LBB7_525
; %bb.524:
	global_load_u16 v3, v[0:1], off
	s_wait_loadcnt 0x0
	v_cvt_f32_f16_e32 v3, v3
	s_delay_alu instid0(VALU_DEP_1)
	v_cvt_f64_f32_e32 v[6:7], v3
.LBB7_525:
	s_mov_b32 s27, 0
.LBB7_526:
	s_delay_alu instid0(SALU_CYCLE_1)
	s_and_not1_b32 vcc_lo, exec_lo, s27
	s_cbranch_vccnz .LBB7_546
; %bb.527:
	s_cmp_lt_i32 s0, 2
	s_cbranch_scc1 .LBB7_531
; %bb.528:
	s_cmp_lt_i32 s0, 3
	s_cbranch_scc1 .LBB7_532
; %bb.529:
	s_cmp_gt_i32 s0, 3
	s_cbranch_scc0 .LBB7_533
; %bb.530:
	s_wait_loadcnt 0x0
	global_load_b64 v[6:7], v[0:1], off
	s_mov_b32 s27, 0
	s_wait_loadcnt 0x0
	v_cvt_f64_i32_e32 v[8:9], v7
	v_cvt_f64_u32_e32 v[6:7], v6
	s_delay_alu instid0(VALU_DEP_2) | instskip(NEXT) | instid1(VALU_DEP_1)
	v_ldexp_f64 v[8:9], v[8:9], 32
	v_add_f64_e32 v[6:7], v[8:9], v[6:7]
	s_branch .LBB7_534
.LBB7_531:
	s_mov_b32 s27, -1
                                        ; implicit-def: $vgpr6_vgpr7
	s_branch .LBB7_540
.LBB7_532:
	s_mov_b32 s27, -1
                                        ; implicit-def: $vgpr6_vgpr7
	s_branch .LBB7_537
.LBB7_533:
	s_mov_b32 s27, -1
                                        ; implicit-def: $vgpr6_vgpr7
.LBB7_534:
	s_delay_alu instid0(SALU_CYCLE_1)
	s_and_not1_b32 vcc_lo, exec_lo, s27
	s_cbranch_vccnz .LBB7_536
; %bb.535:
	global_load_b32 v3, v[0:1], off
	s_wait_loadcnt 0x0
	v_cvt_f64_i32_e32 v[6:7], v3
.LBB7_536:
	s_mov_b32 s27, 0
.LBB7_537:
	s_delay_alu instid0(SALU_CYCLE_1)
	s_and_not1_b32 vcc_lo, exec_lo, s27
	s_cbranch_vccnz .LBB7_539
; %bb.538:
	global_load_i16 v3, v[0:1], off
	s_wait_loadcnt 0x0
	v_cvt_f64_i32_e32 v[6:7], v3
.LBB7_539:
	s_mov_b32 s27, 0
.LBB7_540:
	s_delay_alu instid0(SALU_CYCLE_1)
	s_and_not1_b32 vcc_lo, exec_lo, s27
	s_cbranch_vccnz .LBB7_546
; %bb.541:
	s_cmp_gt_i32 s0, 0
	s_mov_b32 s0, 0
	s_cbranch_scc0 .LBB7_543
; %bb.542:
	global_load_i8 v3, v[0:1], off
	s_wait_loadcnt 0x0
	v_cvt_f64_i32_e32 v[6:7], v3
	s_branch .LBB7_544
.LBB7_543:
	s_mov_b32 s0, -1
                                        ; implicit-def: $vgpr6_vgpr7
.LBB7_544:
	s_delay_alu instid0(SALU_CYCLE_1)
	s_and_not1_b32 vcc_lo, exec_lo, s0
	s_cbranch_vccnz .LBB7_546
; %bb.545:
	global_load_u8 v0, v[0:1], off
	s_wait_loadcnt 0x0
	v_cvt_f64_u32_e32 v[6:7], v0
.LBB7_546:
	s_branch .LBB7_299
.LBB7_547:
	s_mov_b32 s27, 0
	s_mov_b32 s0, s41
.LBB7_548:
                                        ; implicit-def: $vgpr4
.LBB7_549:
	s_and_not1_b32 s28, s41, exec_lo
	s_and_b32 s0, s0, exec_lo
	s_and_not1_b32 s29, s42, exec_lo
	s_and_b32 s26, s26, exec_lo
	s_or_b32 s45, s28, s0
	s_or_b32 s44, s29, s26
	s_or_not1_b32 s0, s27, exec_lo
.LBB7_550:
	s_wait_xcnt 0x0
	s_or_b32 exec_lo, exec_lo, s46
	s_mov_b32 s27, 0
	s_mov_b32 s26, 0
	;; [unrolled: 1-line block ×3, first 2 shown]
                                        ; implicit-def: $vgpr0_vgpr1
                                        ; implicit-def: $vgpr2
                                        ; implicit-def: $vgpr6_vgpr7
	s_and_saveexec_b32 s46, s0
	s_cbranch_execz .LBB7_933
; %bb.551:
	s_mov_b32 s29, -1
	s_mov_b32 s0, s44
	s_mov_b32 s30, s45
	s_mov_b32 s47, exec_lo
	v_cmpx_gt_i32_e64 s38, v4
	s_cbranch_execz .LBB7_830
; %bb.552:
	s_and_not1_b32 vcc_lo, exec_lo, s35
	s_cbranch_vccnz .LBB7_558
; %bb.553:
	s_and_not1_b32 vcc_lo, exec_lo, s40
	s_cbranch_vccnz .LBB7_559
; %bb.554:
	s_add_co_i32 s0, s39, 1
	s_cmp_eq_u32 s33, 2
	s_cbranch_scc1 .LBB7_560
; %bb.555:
	v_dual_mov_b32 v2, 0 :: v_dual_mov_b32 v0, 0
	v_mov_b32_e32 v1, v4
	s_and_b32 s26, s0, 28
	s_mov_b64 s[28:29], s[2:3]
	s_mov_b64 s[30:31], s[24:25]
.LBB7_556:                              ; =>This Inner Loop Header: Depth=1
	s_clause 0x1
	s_load_b256 s[48:55], s[28:29], 0x4
	s_load_b128 s[64:67], s[28:29], 0x24
	s_load_b256 s[56:63], s[30:31], 0x0
	s_add_co_i32 s27, s27, 4
	s_wait_xcnt 0x0
	s_add_nc_u64 s[28:29], s[28:29], 48
	s_cmp_eq_u32 s26, s27
	s_add_nc_u64 s[30:31], s[30:31], 32
	s_wait_kmcnt 0x0
	v_mul_hi_u32 v3, s49, v1
	s_delay_alu instid0(VALU_DEP_1) | instskip(NEXT) | instid1(VALU_DEP_1)
	v_add_nc_u32_e32 v3, v1, v3
	v_lshrrev_b32_e32 v3, s50, v3
	s_delay_alu instid0(VALU_DEP_1) | instskip(NEXT) | instid1(VALU_DEP_1)
	v_mul_hi_u32 v5, s52, v3
	v_add_nc_u32_e32 v5, v3, v5
	s_delay_alu instid0(VALU_DEP_1) | instskip(SKIP_1) | instid1(VALU_DEP_1)
	v_lshrrev_b32_e32 v5, s53, v5
	s_wait_loadcnt 0x0
	v_mul_hi_u32 v6, s55, v5
	s_delay_alu instid0(VALU_DEP_1) | instskip(SKIP_1) | instid1(VALU_DEP_1)
	v_add_nc_u32_e32 v6, v5, v6
	v_mul_lo_u32 v7, v3, s48
	v_sub_nc_u32_e32 v1, v1, v7
	v_mul_lo_u32 v7, v5, s51
	s_delay_alu instid0(VALU_DEP_4) | instskip(NEXT) | instid1(VALU_DEP_3)
	v_lshrrev_b32_e32 v6, s64, v6
	v_mad_u32 v0, v1, s57, v0
	v_mad_u32 v1, v1, s56, v2
	s_delay_alu instid0(VALU_DEP_4) | instskip(NEXT) | instid1(VALU_DEP_4)
	v_sub_nc_u32_e32 v2, v3, v7
	v_mul_hi_u32 v8, s66, v6
	v_mul_lo_u32 v3, v6, s54
	s_delay_alu instid0(VALU_DEP_3) | instskip(SKIP_1) | instid1(VALU_DEP_3)
	v_mad_u32 v0, v2, s59, v0
	v_mad_u32 v2, v2, s58, v1
	v_dual_add_nc_u32 v7, v6, v8 :: v_dual_sub_nc_u32 v3, v5, v3
	s_delay_alu instid0(VALU_DEP_1) | instskip(NEXT) | instid1(VALU_DEP_2)
	v_lshrrev_b32_e32 v1, s67, v7
	v_mad_u32 v0, v3, s61, v0
	s_delay_alu instid0(VALU_DEP_4) | instskip(NEXT) | instid1(VALU_DEP_3)
	v_mad_u32 v2, v3, s60, v2
	v_mul_lo_u32 v5, v1, s65
	s_delay_alu instid0(VALU_DEP_1) | instskip(NEXT) | instid1(VALU_DEP_1)
	v_sub_nc_u32_e32 v3, v6, v5
	v_mad_u32 v0, v3, s63, v0
	s_delay_alu instid0(VALU_DEP_4)
	v_mad_u32 v2, v3, s62, v2
	s_cbranch_scc0 .LBB7_556
; %bb.557:
	s_delay_alu instid0(VALU_DEP_2)
	v_mov_b32_e32 v3, v0
	s_branch .LBB7_561
.LBB7_558:
	s_mov_b32 s0, -1
                                        ; implicit-def: $vgpr0
                                        ; implicit-def: $vgpr2
	s_branch .LBB7_566
.LBB7_559:
	v_dual_mov_b32 v0, 0 :: v_dual_mov_b32 v2, 0
	s_branch .LBB7_565
.LBB7_560:
	v_mov_b64_e32 v[2:3], 0
	v_mov_b32_e32 v1, v4
                                        ; implicit-def: $vgpr0
.LBB7_561:
	s_and_b32 s0, s0, 3
	s_mov_b32 s27, 0
	s_cmp_eq_u32 s0, 0
	s_cbranch_scc1 .LBB7_565
; %bb.562:
	s_lshl_b32 s28, s26, 3
	s_mov_b32 s29, s27
	s_mul_u64 s[30:31], s[26:27], 12
	s_add_nc_u64 s[28:29], s[2:3], s[28:29]
	s_delay_alu instid0(SALU_CYCLE_1)
	s_add_nc_u64 s[26:27], s[28:29], 0xc4
	s_add_nc_u64 s[28:29], s[2:3], s[30:31]
.LBB7_563:                              ; =>This Inner Loop Header: Depth=1
	s_load_b96 s[48:50], s[28:29], 0x4
	s_load_b64 s[30:31], s[26:27], 0x0
	s_add_co_i32 s0, s0, -1
	s_wait_xcnt 0x0
	s_add_nc_u64 s[28:29], s[28:29], 12
	s_cmp_lg_u32 s0, 0
	s_add_nc_u64 s[26:27], s[26:27], 8
	s_wait_kmcnt 0x0
	v_mul_hi_u32 v0, s49, v1
	s_delay_alu instid0(VALU_DEP_1) | instskip(NEXT) | instid1(VALU_DEP_1)
	v_add_nc_u32_e32 v0, v1, v0
	v_lshrrev_b32_e32 v0, s50, v0
	s_delay_alu instid0(VALU_DEP_1) | instskip(NEXT) | instid1(VALU_DEP_1)
	v_mul_lo_u32 v5, v0, s48
	v_sub_nc_u32_e32 v1, v1, v5
	s_delay_alu instid0(VALU_DEP_1)
	v_mad_u32 v3, v1, s31, v3
	v_mad_u32 v2, v1, s30, v2
	v_mov_b32_e32 v1, v0
	s_cbranch_scc1 .LBB7_563
; %bb.564:
	s_delay_alu instid0(VALU_DEP_3)
	v_mov_b32_e32 v0, v3
.LBB7_565:
	s_mov_b32 s0, 0
.LBB7_566:
	s_delay_alu instid0(SALU_CYCLE_1)
	s_and_not1_b32 vcc_lo, exec_lo, s0
	s_cbranch_vccnz .LBB7_569
; %bb.567:
	v_mov_b32_e32 v5, 0
	s_and_not1_b32 vcc_lo, exec_lo, s37
	s_delay_alu instid0(VALU_DEP_1) | instskip(NEXT) | instid1(VALU_DEP_1)
	v_mul_u64_e32 v[0:1], s[20:21], v[4:5]
	v_add_nc_u32_e32 v0, v4, v1
	s_wait_loadcnt 0x0
	s_delay_alu instid0(VALU_DEP_1) | instskip(NEXT) | instid1(VALU_DEP_1)
	v_lshrrev_b32_e32 v6, s10, v0
	v_mul_lo_u32 v0, v6, s8
	s_delay_alu instid0(VALU_DEP_1) | instskip(NEXT) | instid1(VALU_DEP_1)
	v_sub_nc_u32_e32 v1, v4, v0
	v_mul_lo_u32 v0, v1, s13
	v_mul_lo_u32 v2, v1, s12
	s_cbranch_vccnz .LBB7_569
; %bb.568:
	v_mov_b32_e32 v7, v5
	s_delay_alu instid0(VALU_DEP_1) | instskip(NEXT) | instid1(VALU_DEP_1)
	v_mul_u64_e32 v[8:9], s[22:23], v[6:7]
	v_add_nc_u32_e32 v1, v6, v9
	s_delay_alu instid0(VALU_DEP_1) | instskip(NEXT) | instid1(VALU_DEP_1)
	v_lshrrev_b32_e32 v1, s1, v1
	v_mul_lo_u32 v1, v1, s11
	s_delay_alu instid0(VALU_DEP_1) | instskip(NEXT) | instid1(VALU_DEP_1)
	v_sub_nc_u32_e32 v1, v6, v1
	v_mad_u32 v2, v1, s14, v2
	v_mad_u32 v0, v1, s15, v0
.LBB7_569:
	v_mov_b32_e32 v1, 0
	s_and_b32 s0, 0xffff, s9
	s_delay_alu instid0(SALU_CYCLE_1) | instskip(NEXT) | instid1(VALU_DEP_1)
	s_cmp_lt_i32 s0, 11
	v_add_nc_u64_e32 v[0:1], s[6:7], v[0:1]
	s_cbranch_scc1 .LBB7_576
; %bb.570:
	s_cmp_gt_i32 s0, 25
	s_cbranch_scc0 .LBB7_577
; %bb.571:
	s_cmp_gt_i32 s0, 28
	s_cbranch_scc0 .LBB7_578
	;; [unrolled: 3-line block ×4, first 2 shown]
; %bb.574:
	s_cmp_eq_u32 s0, 46
	s_mov_b32 s28, 0
	s_cbranch_scc0 .LBB7_585
; %bb.575:
	global_load_b32 v3, v[0:1], off
	s_mov_b32 s27, -1
	s_mov_b32 s26, 0
	s_wait_loadcnt 0x0
	v_lshlrev_b32_e32 v3, 16, v3
	s_delay_alu instid0(VALU_DEP_1)
	v_cvt_f64_f32_e32 v[6:7], v3
	s_branch .LBB7_587
.LBB7_576:
	s_mov_b32 s28, -1
	s_mov_b32 s27, 0
	s_mov_b32 s26, s44
                                        ; implicit-def: $vgpr6_vgpr7
	s_branch .LBB7_652
.LBB7_577:
	s_mov_b32 s28, -1
	s_mov_b32 s27, 0
	s_mov_b32 s26, s44
                                        ; implicit-def: $vgpr6_vgpr7
	s_branch .LBB7_616
.LBB7_578:
	s_mov_b32 s28, -1
	s_mov_b32 s27, 0
	s_mov_b32 s26, s44
                                        ; implicit-def: $vgpr6_vgpr7
	s_branch .LBB7_597
.LBB7_579:
	s_mov_b32 s28, -1
	s_mov_b32 s27, 0
	s_mov_b32 s26, s44
                                        ; implicit-def: $vgpr6_vgpr7
	s_branch .LBB7_592
.LBB7_580:
	s_and_not1_saveexec_b32 s31, s31
	s_cbranch_execz .LBB7_347
.LBB7_581:
	v_add_f32_e64 v3, 0x46000000, |v2|
	s_and_not1_b32 s30, s30, exec_lo
	s_delay_alu instid0(VALU_DEP_1) | instskip(NEXT) | instid1(VALU_DEP_1)
	v_and_b32_e32 v3, 0xff, v3
	v_cmp_ne_u32_e32 vcc_lo, 0, v3
	s_and_b32 s44, vcc_lo, exec_lo
	s_delay_alu instid0(SALU_CYCLE_1)
	s_or_b32 s30, s30, s44
	s_or_b32 exec_lo, exec_lo, s31
	v_mov_b32_e32 v5, 0
	s_and_saveexec_b32 s31, s30
	s_cbranch_execnz .LBB7_348
	s_branch .LBB7_349
.LBB7_582:
	s_mov_b32 s28, -1
	s_mov_b32 s27, 0
	s_mov_b32 s26, s44
	s_branch .LBB7_586
.LBB7_583:
	s_and_not1_saveexec_b32 s31, s31
	s_cbranch_execz .LBB7_360
.LBB7_584:
	v_add_f32_e64 v3, 0x42800000, |v2|
	s_and_not1_b32 s30, s30, exec_lo
	s_delay_alu instid0(VALU_DEP_1) | instskip(NEXT) | instid1(VALU_DEP_1)
	v_and_b32_e32 v3, 0xff, v3
	v_cmp_ne_u32_e32 vcc_lo, 0, v3
	s_and_b32 s44, vcc_lo, exec_lo
	s_delay_alu instid0(SALU_CYCLE_1)
	s_or_b32 s30, s30, s44
	s_or_b32 exec_lo, exec_lo, s31
	v_mov_b32_e32 v5, 0
	s_and_saveexec_b32 s31, s30
	s_cbranch_execnz .LBB7_361
	s_branch .LBB7_362
.LBB7_585:
	s_mov_b32 s26, -1
	s_mov_b32 s27, 0
.LBB7_586:
                                        ; implicit-def: $vgpr6_vgpr7
.LBB7_587:
	s_and_b32 vcc_lo, exec_lo, s28
	s_cbranch_vccz .LBB7_591
; %bb.588:
	s_cmp_eq_u32 s0, 44
	s_cbranch_scc0 .LBB7_590
; %bb.589:
	global_load_u8 v3, v[0:1], off
	s_mov_b32 s26, 0
	s_mov_b32 s27, -1
	s_wait_loadcnt 0x0
	v_lshlrev_b32_e32 v5, 23, v3
	v_cmp_ne_u32_e32 vcc_lo, 0xff, v3
	s_delay_alu instid0(VALU_DEP_2) | instskip(NEXT) | instid1(VALU_DEP_1)
	v_cvt_f64_f32_e32 v[6:7], v5
	v_cndmask_b32_e32 v5, 0x20000000, v6, vcc_lo
	s_delay_alu instid0(VALU_DEP_2) | instskip(SKIP_1) | instid1(VALU_DEP_2)
	v_cndmask_b32_e32 v6, 0x7ff80000, v7, vcc_lo
	v_cmp_ne_u32_e32 vcc_lo, 0, v3
	v_cndmask_b32_e32 v7, 0x38000000, v6, vcc_lo
	s_delay_alu instid0(VALU_DEP_4)
	v_cndmask_b32_e32 v6, 0, v5, vcc_lo
	s_branch .LBB7_591
.LBB7_590:
	s_mov_b32 s26, -1
                                        ; implicit-def: $vgpr6_vgpr7
.LBB7_591:
	s_mov_b32 s28, 0
.LBB7_592:
	s_delay_alu instid0(SALU_CYCLE_1)
	s_and_b32 vcc_lo, exec_lo, s28
	s_cbranch_vccz .LBB7_596
; %bb.593:
	s_cmp_eq_u32 s0, 29
	s_cbranch_scc0 .LBB7_595
; %bb.594:
	s_wait_loadcnt 0x0
	global_load_b64 v[6:7], v[0:1], off
	s_mov_b32 s27, -1
	s_mov_b32 s26, 0
	s_mov_b32 s28, 0
	s_wait_loadcnt 0x0
	v_cvt_f64_u32_e32 v[8:9], v7
	v_cvt_f64_u32_e32 v[6:7], v6
	s_delay_alu instid0(VALU_DEP_2) | instskip(NEXT) | instid1(VALU_DEP_1)
	v_ldexp_f64 v[8:9], v[8:9], 32
	v_add_f64_e32 v[6:7], v[8:9], v[6:7]
	s_branch .LBB7_597
.LBB7_595:
	s_mov_b32 s26, -1
                                        ; implicit-def: $vgpr6_vgpr7
.LBB7_596:
	s_mov_b32 s28, 0
.LBB7_597:
	s_delay_alu instid0(SALU_CYCLE_1)
	s_and_b32 vcc_lo, exec_lo, s28
	s_cbranch_vccz .LBB7_615
; %bb.598:
	s_cmp_lt_i32 s0, 27
	s_cbranch_scc1 .LBB7_601
; %bb.599:
	s_cmp_gt_i32 s0, 27
	s_cbranch_scc0 .LBB7_602
; %bb.600:
	global_load_b32 v3, v[0:1], off
	s_mov_b32 s27, 0
	s_wait_loadcnt 0x0
	v_cvt_f64_u32_e32 v[6:7], v3
	s_branch .LBB7_603
.LBB7_601:
	s_mov_b32 s27, -1
                                        ; implicit-def: $vgpr6_vgpr7
	s_branch .LBB7_606
.LBB7_602:
	s_mov_b32 s27, -1
                                        ; implicit-def: $vgpr6_vgpr7
.LBB7_603:
	s_delay_alu instid0(SALU_CYCLE_1)
	s_and_not1_b32 vcc_lo, exec_lo, s27
	s_cbranch_vccnz .LBB7_605
; %bb.604:
	global_load_u16 v3, v[0:1], off
	s_wait_loadcnt 0x0
	v_cvt_f64_u32_e32 v[6:7], v3
.LBB7_605:
	s_mov_b32 s27, 0
.LBB7_606:
	s_delay_alu instid0(SALU_CYCLE_1)
	s_and_not1_b32 vcc_lo, exec_lo, s27
	s_cbranch_vccnz .LBB7_614
; %bb.607:
	global_load_u8 v3, v[0:1], off
	s_mov_b32 s27, 0
	s_mov_b32 s28, exec_lo
	s_wait_loadcnt 0x0
	v_cmpx_lt_i16_e32 0x7f, v3
	s_xor_b32 s28, exec_lo, s28
	s_cbranch_execz .LBB7_628
; %bb.608:
	s_mov_b32 s27, -1
	s_mov_b32 s29, exec_lo
	v_cmpx_eq_u16_e32 0x80, v3
; %bb.609:
	s_xor_b32 s27, exec_lo, -1
; %bb.610:
	s_or_b32 exec_lo, exec_lo, s29
	s_delay_alu instid0(SALU_CYCLE_1)
	s_and_b32 s27, s27, exec_lo
	s_or_saveexec_b32 s28, s28
	v_mov_b64_e32 v[6:7], 0x7ff8000020000000
	s_xor_b32 exec_lo, exec_lo, s28
	s_cbranch_execnz .LBB7_629
.LBB7_611:
	s_or_b32 exec_lo, exec_lo, s28
	s_and_saveexec_b32 s28, s27
	s_cbranch_execz .LBB7_613
.LBB7_612:
	v_and_b32_e32 v5, 0xffff, v3
	s_delay_alu instid0(VALU_DEP_1) | instskip(SKIP_1) | instid1(VALU_DEP_2)
	v_and_b32_e32 v6, 7, v5
	v_bfe_u32 v9, v5, 3, 4
	v_clz_i32_u32_e32 v7, v6
	s_delay_alu instid0(VALU_DEP_2) | instskip(NEXT) | instid1(VALU_DEP_2)
	v_cmp_eq_u32_e32 vcc_lo, 0, v9
	v_min_u32_e32 v7, 32, v7
	s_delay_alu instid0(VALU_DEP_1) | instskip(NEXT) | instid1(VALU_DEP_1)
	v_subrev_nc_u32_e32 v8, 28, v7
	v_dual_lshlrev_b32 v5, v8, v5 :: v_dual_sub_nc_u32 v7, 29, v7
	s_delay_alu instid0(VALU_DEP_1) | instskip(NEXT) | instid1(VALU_DEP_1)
	v_dual_lshlrev_b32 v3, 24, v3 :: v_dual_bitop2_b32 v5, 7, v5 bitop3:0x40
	v_dual_cndmask_b32 v5, v6, v5, vcc_lo :: v_dual_cndmask_b32 v7, v9, v7, vcc_lo
	s_delay_alu instid0(VALU_DEP_2) | instskip(NEXT) | instid1(VALU_DEP_2)
	v_and_b32_e32 v3, 0x80000000, v3
	v_lshlrev_b32_e32 v5, 20, v5
	s_delay_alu instid0(VALU_DEP_3) | instskip(NEXT) | instid1(VALU_DEP_1)
	v_lshl_add_u32 v6, v7, 23, 0x3b800000
	v_or3_b32 v3, v3, v6, v5
	s_delay_alu instid0(VALU_DEP_1)
	v_cvt_f64_f32_e32 v[6:7], v3
.LBB7_613:
	s_or_b32 exec_lo, exec_lo, s28
.LBB7_614:
	s_mov_b32 s27, -1
.LBB7_615:
	s_mov_b32 s28, 0
.LBB7_616:
	s_delay_alu instid0(SALU_CYCLE_1)
	s_and_b32 vcc_lo, exec_lo, s28
	s_cbranch_vccz .LBB7_651
; %bb.617:
	s_cmp_gt_i32 s0, 22
	s_cbranch_scc0 .LBB7_627
; %bb.618:
	s_cmp_lt_i32 s0, 24
	s_cbranch_scc1 .LBB7_630
; %bb.619:
	s_cmp_gt_i32 s0, 24
	s_cbranch_scc0 .LBB7_631
; %bb.620:
	global_load_u8 v3, v[0:1], off
	s_mov_b32 s27, 0
	s_mov_b32 s28, exec_lo
	s_wait_loadcnt 0x0
	v_cmpx_lt_i16_e32 0x7f, v3
	s_xor_b32 s28, exec_lo, s28
	s_cbranch_execz .LBB7_643
; %bb.621:
	s_mov_b32 s27, -1
	s_mov_b32 s29, exec_lo
	v_cmpx_eq_u16_e32 0x80, v3
; %bb.622:
	s_xor_b32 s27, exec_lo, -1
; %bb.623:
	s_or_b32 exec_lo, exec_lo, s29
	s_delay_alu instid0(SALU_CYCLE_1)
	s_and_b32 s27, s27, exec_lo
	s_or_saveexec_b32 s28, s28
	v_mov_b64_e32 v[6:7], 0x7ff8000020000000
	s_xor_b32 exec_lo, exec_lo, s28
	s_cbranch_execnz .LBB7_644
.LBB7_624:
	s_or_b32 exec_lo, exec_lo, s28
	s_and_saveexec_b32 s28, s27
	s_cbranch_execz .LBB7_626
.LBB7_625:
	v_and_b32_e32 v5, 0xffff, v3
	s_delay_alu instid0(VALU_DEP_1) | instskip(SKIP_1) | instid1(VALU_DEP_2)
	v_and_b32_e32 v6, 3, v5
	v_bfe_u32 v9, v5, 2, 5
	v_clz_i32_u32_e32 v7, v6
	s_delay_alu instid0(VALU_DEP_2) | instskip(NEXT) | instid1(VALU_DEP_2)
	v_cmp_eq_u32_e32 vcc_lo, 0, v9
	v_min_u32_e32 v7, 32, v7
	s_delay_alu instid0(VALU_DEP_1) | instskip(NEXT) | instid1(VALU_DEP_1)
	v_subrev_nc_u32_e32 v8, 29, v7
	v_dual_lshlrev_b32 v5, v8, v5 :: v_dual_sub_nc_u32 v7, 30, v7
	s_delay_alu instid0(VALU_DEP_1) | instskip(NEXT) | instid1(VALU_DEP_1)
	v_dual_lshlrev_b32 v3, 24, v3 :: v_dual_bitop2_b32 v5, 3, v5 bitop3:0x40
	v_dual_cndmask_b32 v5, v6, v5, vcc_lo :: v_dual_cndmask_b32 v7, v9, v7, vcc_lo
	s_delay_alu instid0(VALU_DEP_2) | instskip(NEXT) | instid1(VALU_DEP_2)
	v_and_b32_e32 v3, 0x80000000, v3
	v_lshlrev_b32_e32 v5, 21, v5
	s_delay_alu instid0(VALU_DEP_3) | instskip(NEXT) | instid1(VALU_DEP_1)
	v_lshl_add_u32 v6, v7, 23, 0x37800000
	v_or3_b32 v3, v3, v6, v5
	s_delay_alu instid0(VALU_DEP_1)
	v_cvt_f64_f32_e32 v[6:7], v3
.LBB7_626:
	s_or_b32 exec_lo, exec_lo, s28
	s_mov_b32 s27, 0
	s_branch .LBB7_632
.LBB7_627:
	s_mov_b32 s28, -1
                                        ; implicit-def: $vgpr6_vgpr7
	s_branch .LBB7_638
.LBB7_628:
	s_or_saveexec_b32 s28, s28
	v_mov_b64_e32 v[6:7], 0x7ff8000020000000
	s_xor_b32 exec_lo, exec_lo, s28
	s_cbranch_execz .LBB7_611
.LBB7_629:
	v_cmp_ne_u16_e32 vcc_lo, 0, v3
	v_mov_b64_e32 v[6:7], 0
	s_and_not1_b32 s27, s27, exec_lo
	s_and_b32 s29, vcc_lo, exec_lo
	s_delay_alu instid0(SALU_CYCLE_1)
	s_or_b32 s27, s27, s29
	s_or_b32 exec_lo, exec_lo, s28
	s_and_saveexec_b32 s28, s27
	s_cbranch_execnz .LBB7_612
	s_branch .LBB7_613
.LBB7_630:
	s_mov_b32 s27, -1
                                        ; implicit-def: $vgpr6_vgpr7
	s_branch .LBB7_635
.LBB7_631:
	s_mov_b32 s27, -1
                                        ; implicit-def: $vgpr6_vgpr7
.LBB7_632:
	s_delay_alu instid0(SALU_CYCLE_1)
	s_and_b32 vcc_lo, exec_lo, s27
	s_cbranch_vccz .LBB7_634
; %bb.633:
	global_load_u8 v3, v[0:1], off
	s_wait_loadcnt 0x0
	v_lshlrev_b32_e32 v3, 24, v3
	s_delay_alu instid0(VALU_DEP_1) | instskip(NEXT) | instid1(VALU_DEP_1)
	v_and_b32_e32 v5, 0x7f000000, v3
	v_clz_i32_u32_e32 v6, v5
	v_cmp_ne_u32_e32 vcc_lo, 0, v5
	v_add_nc_u32_e32 v8, 0x1000000, v5
	s_delay_alu instid0(VALU_DEP_3) | instskip(NEXT) | instid1(VALU_DEP_1)
	v_min_u32_e32 v6, 32, v6
	v_sub_nc_u32_e64 v6, v6, 4 clamp
	s_delay_alu instid0(VALU_DEP_1) | instskip(NEXT) | instid1(VALU_DEP_1)
	v_dual_lshlrev_b32 v7, v6, v5 :: v_dual_lshlrev_b32 v6, 23, v6
	v_lshrrev_b32_e32 v7, 4, v7
	s_delay_alu instid0(VALU_DEP_1) | instskip(NEXT) | instid1(VALU_DEP_1)
	v_dual_sub_nc_u32 v6, v7, v6 :: v_dual_ashrrev_i32 v7, 8, v8
	v_add_nc_u32_e32 v6, 0x3c000000, v6
	s_delay_alu instid0(VALU_DEP_1) | instskip(NEXT) | instid1(VALU_DEP_1)
	v_and_or_b32 v6, 0x7f800000, v7, v6
	v_cndmask_b32_e32 v5, 0, v6, vcc_lo
	s_delay_alu instid0(VALU_DEP_1) | instskip(NEXT) | instid1(VALU_DEP_1)
	v_and_or_b32 v3, 0x80000000, v3, v5
	v_cvt_f64_f32_e32 v[6:7], v3
.LBB7_634:
	s_mov_b32 s27, 0
.LBB7_635:
	s_delay_alu instid0(SALU_CYCLE_1)
	s_and_not1_b32 vcc_lo, exec_lo, s27
	s_cbranch_vccnz .LBB7_637
; %bb.636:
	global_load_u8 v3, v[0:1], off
	s_wait_loadcnt 0x0
	v_lshlrev_b32_e32 v5, 25, v3
	v_lshlrev_b16 v3, 8, v3
	s_delay_alu instid0(VALU_DEP_1) | instskip(NEXT) | instid1(VALU_DEP_3)
	v_and_or_b32 v7, 0x7f00, v3, 0.5
	v_lshrrev_b32_e32 v6, 4, v5
	v_bfe_i32 v3, v3, 0, 16
	s_delay_alu instid0(VALU_DEP_3) | instskip(NEXT) | instid1(VALU_DEP_3)
	v_add_f32_e32 v7, -0.5, v7
	v_or_b32_e32 v6, 0x70000000, v6
	s_delay_alu instid0(VALU_DEP_1) | instskip(SKIP_1) | instid1(VALU_DEP_2)
	v_mul_f32_e32 v6, 0x7800000, v6
	v_cmp_gt_u32_e32 vcc_lo, 0x8000000, v5
	v_cndmask_b32_e32 v5, v6, v7, vcc_lo
	s_delay_alu instid0(VALU_DEP_1) | instskip(NEXT) | instid1(VALU_DEP_1)
	v_and_or_b32 v3, 0x80000000, v3, v5
	v_cvt_f64_f32_e32 v[6:7], v3
.LBB7_637:
	s_mov_b32 s28, 0
	s_mov_b32 s27, -1
.LBB7_638:
	s_and_not1_b32 vcc_lo, exec_lo, s28
	s_cbranch_vccnz .LBB7_651
; %bb.639:
	s_cmp_gt_i32 s0, 14
	s_cbranch_scc0 .LBB7_642
; %bb.640:
	s_cmp_eq_u32 s0, 15
	s_cbranch_scc0 .LBB7_645
; %bb.641:
	global_load_u16 v3, v[0:1], off
	s_mov_b32 s27, -1
	s_mov_b32 s26, 0
	s_wait_loadcnt 0x0
	v_lshlrev_b32_e32 v3, 16, v3
	s_delay_alu instid0(VALU_DEP_1)
	v_cvt_f64_f32_e32 v[6:7], v3
	s_branch .LBB7_646
.LBB7_642:
	s_mov_b32 s28, -1
                                        ; implicit-def: $vgpr6_vgpr7
	s_branch .LBB7_647
.LBB7_643:
	s_or_saveexec_b32 s28, s28
	v_mov_b64_e32 v[6:7], 0x7ff8000020000000
	s_xor_b32 exec_lo, exec_lo, s28
	s_cbranch_execz .LBB7_624
.LBB7_644:
	v_cmp_ne_u16_e32 vcc_lo, 0, v3
	v_mov_b64_e32 v[6:7], 0
	s_and_not1_b32 s27, s27, exec_lo
	s_and_b32 s29, vcc_lo, exec_lo
	s_delay_alu instid0(SALU_CYCLE_1)
	s_or_b32 s27, s27, s29
	s_or_b32 exec_lo, exec_lo, s28
	s_and_saveexec_b32 s28, s27
	s_cbranch_execnz .LBB7_625
	s_branch .LBB7_626
.LBB7_645:
	s_mov_b32 s26, -1
                                        ; implicit-def: $vgpr6_vgpr7
.LBB7_646:
	s_mov_b32 s28, 0
.LBB7_647:
	s_delay_alu instid0(SALU_CYCLE_1)
	s_and_b32 vcc_lo, exec_lo, s28
	s_cbranch_vccz .LBB7_651
; %bb.648:
	s_cmp_eq_u32 s0, 11
	s_cbranch_scc0 .LBB7_650
; %bb.649:
	global_load_u8 v3, v[0:1], off
	s_wait_loadcnt 0x1
	v_mov_b32_e32 v6, 0
	s_mov_b32 s26, 0
	s_mov_b32 s27, -1
	s_wait_loadcnt 0x0
	v_cmp_ne_u16_e32 vcc_lo, 0, v3
	v_cndmask_b32_e64 v7, 0, 0x3ff00000, vcc_lo
	s_branch .LBB7_651
.LBB7_650:
	s_mov_b32 s26, -1
                                        ; implicit-def: $vgpr6_vgpr7
.LBB7_651:
	s_mov_b32 s28, 0
.LBB7_652:
	s_delay_alu instid0(SALU_CYCLE_1)
	s_and_b32 vcc_lo, exec_lo, s28
	s_cbranch_vccz .LBB7_701
; %bb.653:
	s_cmp_lt_i32 s0, 5
	s_cbranch_scc1 .LBB7_658
; %bb.654:
	s_cmp_lt_i32 s0, 8
	s_cbranch_scc1 .LBB7_659
	;; [unrolled: 3-line block ×3, first 2 shown]
; %bb.656:
	s_cmp_gt_i32 s0, 9
	s_cbranch_scc0 .LBB7_661
; %bb.657:
	s_wait_loadcnt 0x0
	global_load_b64 v[6:7], v[0:1], off
	s_mov_b32 s27, 0
	s_branch .LBB7_662
.LBB7_658:
	s_mov_b32 s27, -1
                                        ; implicit-def: $vgpr6_vgpr7
	s_branch .LBB7_680
.LBB7_659:
	s_mov_b32 s27, -1
                                        ; implicit-def: $vgpr6_vgpr7
	s_branch .LBB7_668
.LBB7_660:
	s_mov_b32 s27, -1
                                        ; implicit-def: $vgpr6_vgpr7
	s_branch .LBB7_665
.LBB7_661:
	s_mov_b32 s27, -1
                                        ; implicit-def: $vgpr6_vgpr7
.LBB7_662:
	s_delay_alu instid0(SALU_CYCLE_1)
	s_and_not1_b32 vcc_lo, exec_lo, s27
	s_cbranch_vccnz .LBB7_664
; %bb.663:
	global_load_b32 v3, v[0:1], off
	s_wait_loadcnt 0x0
	v_cvt_f64_f32_e32 v[6:7], v3
.LBB7_664:
	s_mov_b32 s27, 0
.LBB7_665:
	s_delay_alu instid0(SALU_CYCLE_1)
	s_and_not1_b32 vcc_lo, exec_lo, s27
	s_cbranch_vccnz .LBB7_667
; %bb.666:
	global_load_b32 v3, v[0:1], off
	s_wait_loadcnt 0x0
	v_cvt_f32_f16_e32 v3, v3
	s_delay_alu instid0(VALU_DEP_1)
	v_cvt_f64_f32_e32 v[6:7], v3
.LBB7_667:
	s_mov_b32 s27, 0
.LBB7_668:
	s_delay_alu instid0(SALU_CYCLE_1)
	s_and_not1_b32 vcc_lo, exec_lo, s27
	s_cbranch_vccnz .LBB7_679
; %bb.669:
	s_cmp_lt_i32 s0, 6
	s_cbranch_scc1 .LBB7_672
; %bb.670:
	s_cmp_gt_i32 s0, 6
	s_cbranch_scc0 .LBB7_673
; %bb.671:
	s_wait_loadcnt 0x0
	global_load_b64 v[6:7], v[0:1], off
	s_mov_b32 s27, 0
	s_branch .LBB7_674
.LBB7_672:
	s_mov_b32 s27, -1
                                        ; implicit-def: $vgpr6_vgpr7
	s_branch .LBB7_677
.LBB7_673:
	s_mov_b32 s27, -1
                                        ; implicit-def: $vgpr6_vgpr7
.LBB7_674:
	s_delay_alu instid0(SALU_CYCLE_1)
	s_and_not1_b32 vcc_lo, exec_lo, s27
	s_cbranch_vccnz .LBB7_676
; %bb.675:
	global_load_b32 v3, v[0:1], off
	s_wait_loadcnt 0x0
	v_cvt_f64_f32_e32 v[6:7], v3
.LBB7_676:
	s_mov_b32 s27, 0
.LBB7_677:
	s_delay_alu instid0(SALU_CYCLE_1)
	s_and_not1_b32 vcc_lo, exec_lo, s27
	s_cbranch_vccnz .LBB7_679
; %bb.678:
	global_load_u16 v3, v[0:1], off
	s_wait_loadcnt 0x0
	v_cvt_f32_f16_e32 v3, v3
	s_delay_alu instid0(VALU_DEP_1)
	v_cvt_f64_f32_e32 v[6:7], v3
.LBB7_679:
	s_mov_b32 s27, 0
.LBB7_680:
	s_delay_alu instid0(SALU_CYCLE_1)
	s_and_not1_b32 vcc_lo, exec_lo, s27
	s_cbranch_vccnz .LBB7_700
; %bb.681:
	s_cmp_lt_i32 s0, 2
	s_cbranch_scc1 .LBB7_685
; %bb.682:
	s_cmp_lt_i32 s0, 3
	s_cbranch_scc1 .LBB7_686
; %bb.683:
	s_cmp_gt_i32 s0, 3
	s_cbranch_scc0 .LBB7_687
; %bb.684:
	s_wait_loadcnt 0x0
	global_load_b64 v[6:7], v[0:1], off
	s_mov_b32 s27, 0
	s_wait_loadcnt 0x0
	v_cvt_f64_i32_e32 v[8:9], v7
	v_cvt_f64_u32_e32 v[6:7], v6
	s_delay_alu instid0(VALU_DEP_2) | instskip(NEXT) | instid1(VALU_DEP_1)
	v_ldexp_f64 v[8:9], v[8:9], 32
	v_add_f64_e32 v[6:7], v[8:9], v[6:7]
	s_branch .LBB7_688
.LBB7_685:
	s_mov_b32 s27, -1
                                        ; implicit-def: $vgpr6_vgpr7
	s_branch .LBB7_694
.LBB7_686:
	s_mov_b32 s27, -1
                                        ; implicit-def: $vgpr6_vgpr7
	s_branch .LBB7_691
.LBB7_687:
	s_mov_b32 s27, -1
                                        ; implicit-def: $vgpr6_vgpr7
.LBB7_688:
	s_delay_alu instid0(SALU_CYCLE_1)
	s_and_not1_b32 vcc_lo, exec_lo, s27
	s_cbranch_vccnz .LBB7_690
; %bb.689:
	global_load_b32 v3, v[0:1], off
	s_wait_loadcnt 0x0
	v_cvt_f64_i32_e32 v[6:7], v3
.LBB7_690:
	s_mov_b32 s27, 0
.LBB7_691:
	s_delay_alu instid0(SALU_CYCLE_1)
	s_and_not1_b32 vcc_lo, exec_lo, s27
	s_cbranch_vccnz .LBB7_693
; %bb.692:
	global_load_i16 v3, v[0:1], off
	s_wait_loadcnt 0x0
	v_cvt_f64_i32_e32 v[6:7], v3
.LBB7_693:
	s_mov_b32 s27, 0
.LBB7_694:
	s_delay_alu instid0(SALU_CYCLE_1)
	s_and_not1_b32 vcc_lo, exec_lo, s27
	s_cbranch_vccnz .LBB7_700
; %bb.695:
	s_cmp_gt_i32 s0, 0
	s_mov_b32 s0, 0
	s_cbranch_scc0 .LBB7_697
; %bb.696:
	global_load_i8 v3, v[0:1], off
	s_wait_loadcnt 0x0
	v_cvt_f64_i32_e32 v[6:7], v3
	s_branch .LBB7_698
.LBB7_697:
	s_mov_b32 s0, -1
                                        ; implicit-def: $vgpr6_vgpr7
.LBB7_698:
	s_delay_alu instid0(SALU_CYCLE_1)
	s_and_not1_b32 vcc_lo, exec_lo, s0
	s_cbranch_vccnz .LBB7_700
; %bb.699:
	global_load_u8 v0, v[0:1], off
	s_wait_loadcnt 0x0
	v_cvt_f64_u32_e32 v[6:7], v0
.LBB7_700:
	s_mov_b32 s27, -1
.LBB7_701:
	s_delay_alu instid0(SALU_CYCLE_1)
	s_and_not1_b32 vcc_lo, exec_lo, s27
	s_cbranch_vccnz .LBB7_711
; %bb.702:
	s_wait_xcnt 0x0
	v_mov_b64_e32 v[0:1], 1.0
	s_mov_b32 s0, exec_lo
	s_wait_loadcnt 0x0
	s_delay_alu instid0(VALU_DEP_2)
	v_cmpx_lt_f64_e32 s[16:17], v[6:7]
	s_cbranch_execz .LBB7_704
; %bb.703:
	v_add_f64_e32 v[0:1], 0x3e7ad7f29abcaf48, v[6:7]
	s_delay_alu instid0(VALU_DEP_1) | instskip(NEXT) | instid1(VALU_DEP_1)
	v_div_scale_f64 v[6:7], null, v[0:1], v[0:1], s[16:17]
	v_rcp_f64_e32 v[8:9], v[6:7]
	v_nop
	s_delay_alu instid0(TRANS32_DEP_1) | instskip(NEXT) | instid1(VALU_DEP_1)
	v_fma_f64 v[10:11], -v[6:7], v[8:9], 1.0
	v_fmac_f64_e32 v[8:9], v[8:9], v[10:11]
	s_delay_alu instid0(VALU_DEP_1) | instskip(NEXT) | instid1(VALU_DEP_1)
	v_fma_f64 v[10:11], -v[6:7], v[8:9], 1.0
	v_fmac_f64_e32 v[8:9], v[8:9], v[10:11]
	v_div_scale_f64 v[10:11], vcc_lo, s[16:17], v[0:1], s[16:17]
	s_delay_alu instid0(VALU_DEP_1) | instskip(NEXT) | instid1(VALU_DEP_1)
	v_mul_f64_e32 v[12:13], v[10:11], v[8:9]
	v_fma_f64 v[6:7], -v[6:7], v[12:13], v[10:11]
	s_delay_alu instid0(VALU_DEP_1) | instskip(NEXT) | instid1(VALU_DEP_1)
	v_div_fmas_f64 v[6:7], v[6:7], v[8:9], v[12:13]
	v_div_fixup_f64 v[0:1], v[6:7], v[0:1], s[16:17]
.LBB7_704:
	s_or_b32 exec_lo, exec_lo, s0
	v_mov_b32_e32 v3, 0
	s_and_b32 s27, s18, 0xff
	s_delay_alu instid0(SALU_CYCLE_1) | instskip(NEXT) | instid1(VALU_DEP_1)
	s_cmp_lt_i32 s27, 11
	v_add_nc_u64_e32 v[6:7], s[4:5], v[2:3]
	s_cbranch_scc1 .LBB7_712
; %bb.705:
	s_and_b32 s28, 0xffff, s27
	s_delay_alu instid0(SALU_CYCLE_1)
	s_cmp_gt_i32 s28, 25
	s_cbranch_scc0 .LBB7_713
; %bb.706:
	s_cmp_gt_i32 s28, 28
	s_cbranch_scc0 .LBB7_714
; %bb.707:
	s_cmp_gt_i32 s28, 43
	s_cbranch_scc0 .LBB7_715
; %bb.708:
	s_cmp_gt_i32 s28, 45
	s_cbranch_scc0 .LBB7_716
; %bb.709:
	s_mov_b32 s30, 0
	s_mov_b32 s0, -1
	s_cmp_eq_u32 s28, 46
	s_mov_b32 s29, 0
	s_cbranch_scc0 .LBB7_717
; %bb.710:
	s_delay_alu instid0(VALU_DEP_3) | instskip(SKIP_2) | instid1(VALU_DEP_1)
	v_cvt_f32_f64_e32 v2, v[0:1]
	s_mov_b32 s29, -1
	s_mov_b32 s0, 0
	v_bfe_u32 v3, v2, 16, 1
	v_cmp_o_f32_e32 vcc_lo, v2, v2
	s_delay_alu instid0(VALU_DEP_2) | instskip(NEXT) | instid1(VALU_DEP_1)
	v_add3_u32 v3, v2, v3, 0x7fff
	v_lshrrev_b32_e32 v3, 16, v3
	s_delay_alu instid0(VALU_DEP_1)
	v_cndmask_b32_e32 v2, 0x7fc0, v3, vcc_lo
	global_store_b32 v[6:7], v2, off
	s_branch .LBB7_717
.LBB7_711:
	s_mov_b32 s27, 0
	s_mov_b32 s0, s45
	s_branch .LBB7_828
.LBB7_712:
	s_mov_b32 s28, -1
	s_mov_b32 s29, 0
	s_mov_b32 s0, s45
	s_branch .LBB7_786
.LBB7_713:
	s_mov_b32 s30, -1
	s_mov_b32 s29, 0
	s_mov_b32 s0, s45
	s_branch .LBB7_744
.LBB7_714:
	s_mov_b32 s30, -1
	s_mov_b32 s29, 0
	s_mov_b32 s0, s45
	s_branch .LBB7_727
.LBB7_715:
	s_mov_b32 s30, -1
	s_mov_b32 s29, 0
	s_mov_b32 s0, s45
	s_branch .LBB7_723
.LBB7_716:
	s_mov_b32 s30, -1
	s_mov_b32 s29, 0
	s_mov_b32 s0, s45
.LBB7_717:
	s_and_b32 vcc_lo, exec_lo, s30
	s_cbranch_vccz .LBB7_722
; %bb.718:
	s_cmp_eq_u32 s28, 44
	s_mov_b32 s0, -1
	s_cbranch_scc0 .LBB7_722
; %bb.719:
	s_wait_xcnt 0x0
	s_delay_alu instid0(VALU_DEP_3) | instskip(SKIP_2) | instid1(VALU_DEP_2)
	v_cvt_f32_f64_e32 v2, v[0:1]
	v_mov_b32_e32 v3, 0xff
	s_mov_b32 s29, exec_lo
	v_bfe_u32 v5, v2, 23, 8
	s_delay_alu instid0(VALU_DEP_1)
	v_cmpx_ne_u32_e32 0xff, v5
	s_cbranch_execz .LBB7_721
; %bb.720:
	v_and_b32_e32 v3, 0x400000, v2
	v_and_or_b32 v5, 0x3fffff, v2, v5
	v_lshrrev_b32_e32 v2, 23, v2
	s_delay_alu instid0(VALU_DEP_3) | instskip(NEXT) | instid1(VALU_DEP_3)
	v_cmp_ne_u32_e32 vcc_lo, 0, v3
	v_cmp_ne_u32_e64 s0, 0, v5
	s_and_b32 s0, vcc_lo, s0
	s_delay_alu instid0(SALU_CYCLE_1) | instskip(NEXT) | instid1(VALU_DEP_1)
	v_cndmask_b32_e64 v3, 0, 1, s0
	v_add_nc_u32_e32 v3, v2, v3
.LBB7_721:
	s_or_b32 exec_lo, exec_lo, s29
	s_mov_b32 s29, -1
	s_mov_b32 s0, 0
	global_store_b8 v[6:7], v3, off
.LBB7_722:
	s_mov_b32 s30, 0
.LBB7_723:
	s_delay_alu instid0(SALU_CYCLE_1)
	s_and_b32 vcc_lo, exec_lo, s30
	s_cbranch_vccz .LBB7_726
; %bb.724:
	s_cmp_eq_u32 s28, 29
	s_mov_b32 s0, -1
	s_cbranch_scc0 .LBB7_726
; %bb.725:
	s_wait_xcnt 0x0
	s_delay_alu instid0(VALU_DEP_3) | instskip(SKIP_3) | instid1(VALU_DEP_1)
	v_trunc_f64_e32 v[2:3], v[0:1]
	s_mov_b32 s29, -1
	s_mov_b32 s0, 0
	s_mov_b32 s30, 0
	v_ldexp_f64 v[8:9], v[2:3], 0xffffffe0
	s_delay_alu instid0(VALU_DEP_1) | instskip(NEXT) | instid1(VALU_DEP_1)
	v_floor_f64_e32 v[8:9], v[8:9]
	v_fmamk_f64 v[2:3], v[8:9], 0xc1f00000, v[2:3]
	v_cvt_u32_f64_e32 v9, v[8:9]
	s_delay_alu instid0(VALU_DEP_2)
	v_cvt_u32_f64_e32 v8, v[2:3]
	global_store_b64 v[6:7], v[8:9], off
	s_branch .LBB7_727
.LBB7_726:
	s_mov_b32 s30, 0
.LBB7_727:
	s_delay_alu instid0(SALU_CYCLE_1)
	s_and_b32 vcc_lo, exec_lo, s30
	s_cbranch_vccz .LBB7_743
; %bb.728:
	s_cmp_lt_i32 s28, 27
	s_mov_b32 s29, -1
	s_cbranch_scc1 .LBB7_734
; %bb.729:
	s_wait_xcnt 0x0
	s_delay_alu instid0(VALU_DEP_3)
	v_cvt_u32_f64_e32 v2, v[0:1]
	s_cmp_gt_i32 s28, 27
	s_cbranch_scc0 .LBB7_731
; %bb.730:
	s_mov_b32 s29, 0
	global_store_b32 v[6:7], v2, off
.LBB7_731:
	s_and_not1_b32 vcc_lo, exec_lo, s29
	s_cbranch_vccnz .LBB7_733
; %bb.732:
	global_store_b16 v[6:7], v2, off
.LBB7_733:
	s_mov_b32 s29, 0
.LBB7_734:
	s_delay_alu instid0(SALU_CYCLE_1)
	s_and_not1_b32 vcc_lo, exec_lo, s29
	s_cbranch_vccnz .LBB7_742
; %bb.735:
	s_wait_xcnt 0x0
	s_delay_alu instid0(VALU_DEP_3) | instskip(SKIP_2) | instid1(VALU_DEP_2)
	v_cvt_f32_f64_e32 v2, v[0:1]
	v_mov_b32_e32 v5, 0x80
	s_mov_b32 s29, exec_lo
	v_and_b32_e32 v3, 0x7fffffff, v2
	s_delay_alu instid0(VALU_DEP_1)
	v_cmpx_gt_u32_e32 0x43800000, v3
	s_cbranch_execz .LBB7_741
; %bb.736:
	v_cmp_lt_u32_e32 vcc_lo, 0x3bffffff, v3
	s_mov_b32 s30, 0
                                        ; implicit-def: $vgpr3
	s_and_saveexec_b32 s31, vcc_lo
	s_delay_alu instid0(SALU_CYCLE_1)
	s_xor_b32 s31, exec_lo, s31
	s_cbranch_execz .LBB7_860
; %bb.737:
	v_bfe_u32 v3, v2, 20, 1
	s_mov_b32 s30, exec_lo
	s_delay_alu instid0(VALU_DEP_1) | instskip(NEXT) | instid1(VALU_DEP_1)
	v_add3_u32 v3, v2, v3, 0x487ffff
	v_lshrrev_b32_e32 v3, 20, v3
	s_and_not1_saveexec_b32 s31, s31
	s_cbranch_execnz .LBB7_861
.LBB7_738:
	s_or_b32 exec_lo, exec_lo, s31
	v_mov_b32_e32 v5, 0
	s_and_saveexec_b32 s31, s30
.LBB7_739:
	v_lshrrev_b32_e32 v2, 24, v2
	s_delay_alu instid0(VALU_DEP_1)
	v_and_or_b32 v5, 0x80, v2, v3
.LBB7_740:
	s_or_b32 exec_lo, exec_lo, s31
.LBB7_741:
	s_delay_alu instid0(SALU_CYCLE_1)
	s_or_b32 exec_lo, exec_lo, s29
	global_store_b8 v[6:7], v5, off
.LBB7_742:
	s_mov_b32 s29, -1
.LBB7_743:
	s_mov_b32 s30, 0
.LBB7_744:
	s_delay_alu instid0(SALU_CYCLE_1)
	s_and_b32 vcc_lo, exec_lo, s30
	s_cbranch_vccz .LBB7_785
; %bb.745:
	s_cmp_gt_i32 s28, 22
	s_mov_b32 s30, -1
	s_cbranch_scc0 .LBB7_777
; %bb.746:
	s_cmp_lt_i32 s28, 24
	s_mov_b32 s29, -1
	s_cbranch_scc1 .LBB7_766
; %bb.747:
	s_cmp_gt_i32 s28, 24
	s_cbranch_scc0 .LBB7_755
; %bb.748:
	s_wait_xcnt 0x0
	s_delay_alu instid0(VALU_DEP_3) | instskip(SKIP_2) | instid1(VALU_DEP_2)
	v_cvt_f32_f64_e32 v2, v[0:1]
	v_mov_b32_e32 v5, 0x80
	s_mov_b32 s29, exec_lo
	v_and_b32_e32 v3, 0x7fffffff, v2
	s_delay_alu instid0(VALU_DEP_1)
	v_cmpx_gt_u32_e32 0x47800000, v3
	s_cbranch_execz .LBB7_754
; %bb.749:
	v_cmp_lt_u32_e32 vcc_lo, 0x37ffffff, v3
	s_mov_b32 s30, 0
                                        ; implicit-def: $vgpr3
	s_and_saveexec_b32 s31, vcc_lo
	s_delay_alu instid0(SALU_CYCLE_1)
	s_xor_b32 s31, exec_lo, s31
	s_cbranch_execz .LBB7_863
; %bb.750:
	v_bfe_u32 v3, v2, 21, 1
	s_mov_b32 s30, exec_lo
	s_delay_alu instid0(VALU_DEP_1) | instskip(NEXT) | instid1(VALU_DEP_1)
	v_add3_u32 v3, v2, v3, 0x88fffff
	v_lshrrev_b32_e32 v3, 21, v3
	s_and_not1_saveexec_b32 s31, s31
	s_cbranch_execnz .LBB7_864
.LBB7_751:
	s_or_b32 exec_lo, exec_lo, s31
	v_mov_b32_e32 v5, 0
	s_and_saveexec_b32 s31, s30
.LBB7_752:
	v_lshrrev_b32_e32 v2, 24, v2
	s_delay_alu instid0(VALU_DEP_1)
	v_and_or_b32 v5, 0x80, v2, v3
.LBB7_753:
	s_or_b32 exec_lo, exec_lo, s31
.LBB7_754:
	s_delay_alu instid0(SALU_CYCLE_1)
	s_or_b32 exec_lo, exec_lo, s29
	s_mov_b32 s29, 0
	global_store_b8 v[6:7], v5, off
.LBB7_755:
	s_and_b32 vcc_lo, exec_lo, s29
	s_cbranch_vccz .LBB7_765
; %bb.756:
	s_wait_xcnt 0x0
	s_delay_alu instid0(VALU_DEP_3) | instskip(SKIP_1) | instid1(VALU_DEP_1)
	v_cvt_f32_f64_e32 v2, v[0:1]
	s_mov_b32 s29, exec_lo
                                        ; implicit-def: $vgpr3
	v_and_b32_e32 v5, 0x7fffffff, v2
	s_delay_alu instid0(VALU_DEP_1)
	v_cmpx_gt_u32_e32 0x43f00000, v5
	s_xor_b32 s29, exec_lo, s29
	s_cbranch_execz .LBB7_762
; %bb.757:
	s_mov_b32 s30, exec_lo
                                        ; implicit-def: $vgpr3
	v_cmpx_lt_u32_e32 0x3c7fffff, v5
	s_xor_b32 s30, exec_lo, s30
; %bb.758:
	v_bfe_u32 v3, v2, 20, 1
	s_delay_alu instid0(VALU_DEP_1) | instskip(NEXT) | instid1(VALU_DEP_1)
	v_add3_u32 v3, v2, v3, 0x407ffff
	v_and_b32_e32 v5, 0xff00000, v3
	v_lshrrev_b32_e32 v3, 20, v3
	s_delay_alu instid0(VALU_DEP_2) | instskip(NEXT) | instid1(VALU_DEP_2)
	v_cmp_ne_u32_e32 vcc_lo, 0x7f00000, v5
	v_cndmask_b32_e32 v3, 0x7e, v3, vcc_lo
; %bb.759:
	s_and_not1_saveexec_b32 s30, s30
; %bb.760:
	v_add_f32_e64 v3, 0x46800000, |v2|
; %bb.761:
	s_or_b32 exec_lo, exec_lo, s30
                                        ; implicit-def: $vgpr5
.LBB7_762:
	s_and_not1_saveexec_b32 s29, s29
; %bb.763:
	v_mov_b32_e32 v3, 0x7f
	v_cmp_lt_u32_e32 vcc_lo, 0x7f800000, v5
	s_delay_alu instid0(VALU_DEP_2)
	v_cndmask_b32_e32 v3, 0x7e, v3, vcc_lo
; %bb.764:
	s_or_b32 exec_lo, exec_lo, s29
	v_lshrrev_b32_e32 v2, 24, v2
	s_delay_alu instid0(VALU_DEP_1)
	v_and_or_b32 v2, 0x80, v2, v3
	global_store_b8 v[6:7], v2, off
.LBB7_765:
	s_mov_b32 s29, 0
.LBB7_766:
	s_delay_alu instid0(SALU_CYCLE_1)
	s_and_not1_b32 vcc_lo, exec_lo, s29
	s_cbranch_vccnz .LBB7_776
; %bb.767:
	s_wait_xcnt 0x0
	s_delay_alu instid0(VALU_DEP_3) | instskip(SKIP_1) | instid1(VALU_DEP_1)
	v_cvt_f32_f64_e32 v2, v[0:1]
	s_mov_b32 s29, exec_lo
                                        ; implicit-def: $vgpr3
	v_and_b32_e32 v5, 0x7fffffff, v2
	s_delay_alu instid0(VALU_DEP_1)
	v_cmpx_gt_u32_e32 0x47800000, v5
	s_xor_b32 s29, exec_lo, s29
	s_cbranch_execz .LBB7_773
; %bb.768:
	s_mov_b32 s30, exec_lo
                                        ; implicit-def: $vgpr3
	v_cmpx_lt_u32_e32 0x387fffff, v5
	s_xor_b32 s30, exec_lo, s30
; %bb.769:
	v_bfe_u32 v3, v2, 21, 1
	s_delay_alu instid0(VALU_DEP_1) | instskip(NEXT) | instid1(VALU_DEP_1)
	v_add3_u32 v3, v2, v3, 0x80fffff
	v_lshrrev_b32_e32 v3, 21, v3
; %bb.770:
	s_and_not1_saveexec_b32 s30, s30
; %bb.771:
	v_add_f32_e64 v3, 0x43000000, |v2|
; %bb.772:
	s_or_b32 exec_lo, exec_lo, s30
                                        ; implicit-def: $vgpr5
.LBB7_773:
	s_and_not1_saveexec_b32 s29, s29
; %bb.774:
	v_mov_b32_e32 v3, 0x7f
	v_cmp_lt_u32_e32 vcc_lo, 0x7f800000, v5
	s_delay_alu instid0(VALU_DEP_2)
	v_cndmask_b32_e32 v3, 0x7c, v3, vcc_lo
; %bb.775:
	s_or_b32 exec_lo, exec_lo, s29
	v_lshrrev_b32_e32 v2, 24, v2
	s_delay_alu instid0(VALU_DEP_1)
	v_and_or_b32 v2, 0x80, v2, v3
	global_store_b8 v[6:7], v2, off
.LBB7_776:
	s_mov_b32 s30, 0
	s_mov_b32 s29, -1
.LBB7_777:
	s_and_not1_b32 vcc_lo, exec_lo, s30
	s_cbranch_vccnz .LBB7_785
; %bb.778:
	s_cmp_gt_i32 s28, 14
	s_mov_b32 s30, -1
	s_cbranch_scc0 .LBB7_782
; %bb.779:
	s_cmp_eq_u32 s28, 15
	s_mov_b32 s0, -1
	s_cbranch_scc0 .LBB7_781
; %bb.780:
	s_wait_xcnt 0x0
	s_delay_alu instid0(VALU_DEP_3) | instskip(SKIP_2) | instid1(VALU_DEP_1)
	v_cvt_f32_f64_e32 v2, v[0:1]
	s_mov_b32 s29, -1
	s_mov_b32 s0, 0
	v_bfe_u32 v3, v2, 16, 1
	v_cmp_o_f32_e32 vcc_lo, v2, v2
	s_delay_alu instid0(VALU_DEP_2) | instskip(NEXT) | instid1(VALU_DEP_1)
	v_add3_u32 v3, v2, v3, 0x7fff
	v_lshrrev_b32_e32 v3, 16, v3
	s_delay_alu instid0(VALU_DEP_1)
	v_cndmask_b32_e32 v2, 0x7fc0, v3, vcc_lo
	global_store_b16 v[6:7], v2, off
.LBB7_781:
	s_mov_b32 s30, 0
.LBB7_782:
	s_delay_alu instid0(SALU_CYCLE_1)
	s_and_b32 vcc_lo, exec_lo, s30
	s_cbranch_vccz .LBB7_785
; %bb.783:
	s_cmp_eq_u32 s28, 11
	s_mov_b32 s0, -1
	s_cbranch_scc0 .LBB7_785
; %bb.784:
	s_delay_alu instid0(VALU_DEP_3)
	v_cmp_neq_f64_e32 vcc_lo, 0, v[0:1]
	s_mov_b32 s29, -1
	s_mov_b32 s0, 0
	s_wait_xcnt 0x0
	v_cndmask_b32_e64 v2, 0, 1, vcc_lo
	global_store_b8 v[6:7], v2, off
.LBB7_785:
	s_mov_b32 s28, 0
.LBB7_786:
	s_delay_alu instid0(SALU_CYCLE_1)
	s_and_b32 vcc_lo, exec_lo, s28
	s_cbranch_vccz .LBB7_825
; %bb.787:
	s_and_b32 s27, 0xffff, s27
	s_mov_b32 s28, -1
	s_cmp_lt_i32 s27, 5
	s_cbranch_scc1 .LBB7_808
; %bb.788:
	s_cmp_lt_i32 s27, 8
	s_cbranch_scc1 .LBB7_798
; %bb.789:
	;; [unrolled: 3-line block ×3, first 2 shown]
	s_cmp_gt_i32 s27, 9
	s_cbranch_scc0 .LBB7_792
; %bb.791:
	s_wait_xcnt 0x0
	v_mov_b32_e32 v2, 0
	s_mov_b32 s28, 0
	s_delay_alu instid0(VALU_DEP_1)
	v_mov_b32_e32 v3, v2
	global_store_b128 v[6:7], v[0:3], off
.LBB7_792:
	s_and_not1_b32 vcc_lo, exec_lo, s28
	s_cbranch_vccnz .LBB7_794
; %bb.793:
	s_wait_xcnt 0x0
	s_delay_alu instid0(VALU_DEP_3)
	v_cvt_f32_f64_e32 v2, v[0:1]
	v_mov_b32_e32 v3, 0
	global_store_b64 v[6:7], v[2:3], off
.LBB7_794:
	s_mov_b32 s28, 0
.LBB7_795:
	s_delay_alu instid0(SALU_CYCLE_1)
	s_and_not1_b32 vcc_lo, exec_lo, s28
	s_cbranch_vccnz .LBB7_797
; %bb.796:
	s_wait_xcnt 0x0
	s_delay_alu instid0(VALU_DEP_3) | instskip(SKIP_2) | instid1(VALU_DEP_3)
	v_and_or_b32 v2, 0x1ff, v1, v0
	v_lshrrev_b32_e32 v3, 8, v1
	v_bfe_u32 v5, v1, 20, 11
	v_cmp_ne_u32_e32 vcc_lo, 0, v2
	s_delay_alu instid0(VALU_DEP_2) | instskip(SKIP_2) | instid1(VALU_DEP_1)
	v_sub_nc_u32_e32 v8, 0x3f1, v5
	v_add_nc_u32_e32 v5, 0xfffffc10, v5
	v_cndmask_b32_e64 v2, 0, 1, vcc_lo
	v_and_or_b32 v2, 0xffe, v3, v2
	s_delay_alu instid0(VALU_DEP_4) | instskip(NEXT) | instid1(VALU_DEP_2)
	v_med3_i32 v3, v8, 0, 13
	v_or_b32_e32 v8, 0x1000, v2
	s_delay_alu instid0(VALU_DEP_1) | instskip(NEXT) | instid1(VALU_DEP_1)
	v_lshrrev_b32_e32 v9, v3, v8
	v_lshlrev_b32_e32 v3, v3, v9
	s_delay_alu instid0(VALU_DEP_1) | instskip(SKIP_3) | instid1(VALU_DEP_2)
	v_cmp_ne_u32_e32 vcc_lo, v3, v8
	v_lshl_or_b32 v8, v5, 12, v2
	v_cndmask_b32_e64 v3, 0, 1, vcc_lo
	v_cmp_gt_i32_e32 vcc_lo, 1, v5
	v_or_b32_e32 v3, v9, v3
	s_delay_alu instid0(VALU_DEP_1) | instskip(NEXT) | instid1(VALU_DEP_1)
	v_cndmask_b32_e32 v3, v8, v3, vcc_lo
	v_dual_lshrrev_b32 v3, 2, v3 :: v_dual_bitop2_b32 v8, 7, v3 bitop3:0x40
	s_delay_alu instid0(VALU_DEP_1) | instskip(SKIP_4) | instid1(VALU_DEP_2)
	v_cmp_lt_i32_e32 vcc_lo, 5, v8
	v_cndmask_b32_e64 v9, 0, 1, vcc_lo
	v_cmp_eq_u32_e32 vcc_lo, 3, v8
	v_cndmask_b32_e64 v8, 0, 1, vcc_lo
	v_cmp_ne_u32_e32 vcc_lo, 0, v2
	v_or_b32_e32 v8, v8, v9
	v_mov_b32_e32 v9, 0x7e00
	s_delay_alu instid0(VALU_DEP_1) | instskip(SKIP_1) | instid1(VALU_DEP_2)
	v_dual_cndmask_b32 v2, 0x7c00, v9 :: v_dual_add_nc_u32 v3, v3, v8
	v_cmp_gt_i32_e32 vcc_lo, 31, v5
	v_dual_cndmask_b32 v3, 0x7c00, v3 :: v_dual_lshrrev_b32 v8, 16, v1
	v_cmp_eq_u32_e32 vcc_lo, 0x40f, v5
	s_delay_alu instid0(VALU_DEP_2) | instskip(NEXT) | instid1(VALU_DEP_3)
	v_cndmask_b32_e32 v2, v3, v2, vcc_lo
	v_and_b32_e32 v3, 0x8000, v8
	s_delay_alu instid0(VALU_DEP_1)
	v_bitop3_b32 v2, v3, 0xffff, v2 bitop3:0xc8
	global_store_b32 v[6:7], v2, off
.LBB7_797:
	s_mov_b32 s28, 0
.LBB7_798:
	s_delay_alu instid0(SALU_CYCLE_1)
	s_and_not1_b32 vcc_lo, exec_lo, s28
	s_cbranch_vccnz .LBB7_807
; %bb.799:
	s_cmp_lt_i32 s27, 6
	s_mov_b32 s28, -1
	s_cbranch_scc1 .LBB7_805
; %bb.800:
	s_cmp_gt_i32 s27, 6
	s_cbranch_scc0 .LBB7_802
; %bb.801:
	s_mov_b32 s28, 0
	global_store_b64 v[6:7], v[0:1], off
.LBB7_802:
	s_and_not1_b32 vcc_lo, exec_lo, s28
	s_cbranch_vccnz .LBB7_804
; %bb.803:
	s_wait_xcnt 0x0
	s_delay_alu instid0(VALU_DEP_3)
	v_cvt_f32_f64_e32 v2, v[0:1]
	global_store_b32 v[6:7], v2, off
.LBB7_804:
	s_mov_b32 s28, 0
.LBB7_805:
	s_delay_alu instid0(SALU_CYCLE_1)
	s_and_not1_b32 vcc_lo, exec_lo, s28
	s_cbranch_vccnz .LBB7_807
; %bb.806:
	s_wait_xcnt 0x0
	s_delay_alu instid0(VALU_DEP_3) | instskip(SKIP_2) | instid1(VALU_DEP_3)
	v_and_or_b32 v2, 0x1ff, v1, v0
	v_lshrrev_b32_e32 v3, 8, v1
	v_bfe_u32 v5, v1, 20, 11
	v_cmp_ne_u32_e32 vcc_lo, 0, v2
	s_delay_alu instid0(VALU_DEP_2) | instskip(SKIP_2) | instid1(VALU_DEP_1)
	v_sub_nc_u32_e32 v8, 0x3f1, v5
	v_add_nc_u32_e32 v5, 0xfffffc10, v5
	v_cndmask_b32_e64 v2, 0, 1, vcc_lo
	v_and_or_b32 v2, 0xffe, v3, v2
	s_delay_alu instid0(VALU_DEP_4) | instskip(NEXT) | instid1(VALU_DEP_2)
	v_med3_i32 v3, v8, 0, 13
	v_or_b32_e32 v8, 0x1000, v2
	s_delay_alu instid0(VALU_DEP_1) | instskip(NEXT) | instid1(VALU_DEP_1)
	v_lshrrev_b32_e32 v9, v3, v8
	v_lshlrev_b32_e32 v3, v3, v9
	s_delay_alu instid0(VALU_DEP_1) | instskip(SKIP_3) | instid1(VALU_DEP_2)
	v_cmp_ne_u32_e32 vcc_lo, v3, v8
	v_lshl_or_b32 v8, v5, 12, v2
	v_cndmask_b32_e64 v3, 0, 1, vcc_lo
	v_cmp_gt_i32_e32 vcc_lo, 1, v5
	v_or_b32_e32 v3, v9, v3
	s_delay_alu instid0(VALU_DEP_1) | instskip(NEXT) | instid1(VALU_DEP_1)
	v_cndmask_b32_e32 v3, v8, v3, vcc_lo
	v_dual_lshrrev_b32 v3, 2, v3 :: v_dual_bitop2_b32 v8, 7, v3 bitop3:0x40
	s_delay_alu instid0(VALU_DEP_1) | instskip(SKIP_4) | instid1(VALU_DEP_2)
	v_cmp_lt_i32_e32 vcc_lo, 5, v8
	v_cndmask_b32_e64 v9, 0, 1, vcc_lo
	v_cmp_eq_u32_e32 vcc_lo, 3, v8
	v_cndmask_b32_e64 v8, 0, 1, vcc_lo
	v_cmp_ne_u32_e32 vcc_lo, 0, v2
	v_or_b32_e32 v8, v8, v9
	v_mov_b32_e32 v9, 0x7e00
	s_delay_alu instid0(VALU_DEP_1) | instskip(SKIP_1) | instid1(VALU_DEP_2)
	v_dual_cndmask_b32 v2, 0x7c00, v9 :: v_dual_add_nc_u32 v3, v3, v8
	v_cmp_gt_i32_e32 vcc_lo, 31, v5
	v_cndmask_b32_e32 v3, 0x7c00, v3, vcc_lo
	v_cmp_eq_u32_e32 vcc_lo, 0x40f, v5
	s_delay_alu instid0(VALU_DEP_2) | instskip(NEXT) | instid1(VALU_DEP_1)
	v_dual_cndmask_b32 v2, v3, v2 :: v_dual_lshrrev_b32 v3, 16, v1
	v_and_or_b32 v2, 0x8000, v3, v2
	global_store_b16 v[6:7], v2, off
.LBB7_807:
	s_mov_b32 s28, 0
.LBB7_808:
	s_delay_alu instid0(SALU_CYCLE_1)
	s_and_not1_b32 vcc_lo, exec_lo, s28
	s_cbranch_vccnz .LBB7_824
; %bb.809:
	s_cmp_lt_i32 s27, 2
	s_mov_b32 s28, -1
	s_cbranch_scc1 .LBB7_819
; %bb.810:
	s_cmp_lt_i32 s27, 3
	s_cbranch_scc1 .LBB7_816
; %bb.811:
	s_cmp_gt_i32 s27, 3
	s_cbranch_scc0 .LBB7_813
; %bb.812:
	s_wait_xcnt 0x0
	s_delay_alu instid0(VALU_DEP_3) | instskip(SKIP_1) | instid1(VALU_DEP_1)
	v_trunc_f64_e32 v[2:3], v[0:1]
	s_mov_b32 s28, 0
	v_ldexp_f64 v[8:9], v[2:3], 0xffffffe0
	s_delay_alu instid0(VALU_DEP_1) | instskip(NEXT) | instid1(VALU_DEP_1)
	v_floor_f64_e32 v[8:9], v[8:9]
	v_fmamk_f64 v[2:3], v[8:9], 0xc1f00000, v[2:3]
	v_cvt_i32_f64_e32 v9, v[8:9]
	s_delay_alu instid0(VALU_DEP_2)
	v_cvt_u32_f64_e32 v8, v[2:3]
	global_store_b64 v[6:7], v[8:9], off
.LBB7_813:
	s_and_not1_b32 vcc_lo, exec_lo, s28
	s_cbranch_vccnz .LBB7_815
; %bb.814:
	s_wait_xcnt 0x0
	s_delay_alu instid0(VALU_DEP_3)
	v_cvt_i32_f64_e32 v2, v[0:1]
	global_store_b32 v[6:7], v2, off
.LBB7_815:
	s_mov_b32 s28, 0
.LBB7_816:
	s_delay_alu instid0(SALU_CYCLE_1)
	s_and_not1_b32 vcc_lo, exec_lo, s28
	s_cbranch_vccnz .LBB7_818
; %bb.817:
	s_wait_xcnt 0x0
	s_delay_alu instid0(VALU_DEP_3)
	v_cvt_i32_f64_e32 v2, v[0:1]
	global_store_b16 v[6:7], v2, off
.LBB7_818:
	s_mov_b32 s28, 0
.LBB7_819:
	s_delay_alu instid0(SALU_CYCLE_1)
	s_and_not1_b32 vcc_lo, exec_lo, s28
	s_cbranch_vccnz .LBB7_824
; %bb.820:
	s_cmp_gt_i32 s27, 0
	s_mov_b32 s27, -1
	s_cbranch_scc0 .LBB7_822
; %bb.821:
	s_wait_xcnt 0x0
	s_delay_alu instid0(VALU_DEP_3)
	v_cvt_i32_f64_e32 v2, v[0:1]
	s_mov_b32 s27, 0
	global_store_b8 v[6:7], v2, off
.LBB7_822:
	s_and_not1_b32 vcc_lo, exec_lo, s27
	s_cbranch_vccnz .LBB7_824
; %bb.823:
	s_wait_xcnt 0x0
	s_delay_alu instid0(VALU_DEP_3) | instskip(NEXT) | instid1(VALU_DEP_1)
	v_trunc_f64_e32 v[0:1], v[0:1]
	v_ldexp_f64 v[2:3], v[0:1], 0xffffffe0
	s_delay_alu instid0(VALU_DEP_1) | instskip(NEXT) | instid1(VALU_DEP_1)
	v_floor_f64_e32 v[2:3], v[2:3]
	v_fmamk_f64 v[0:1], v[2:3], 0xc1f00000, v[0:1]
	s_delay_alu instid0(VALU_DEP_1)
	v_cvt_u32_f64_e32 v0, v[0:1]
	global_store_b8 v[6:7], v0, off
.LBB7_824:
	s_mov_b32 s29, -1
.LBB7_825:
	s_delay_alu instid0(SALU_CYCLE_1)
	s_and_not1_b32 vcc_lo, exec_lo, s29
	s_cbranch_vccnz .LBB7_827
; %bb.826:
	v_add_nc_u32_e32 v4, 0x80, v4
	s_mov_b32 s27, -1
	s_branch .LBB7_829
.LBB7_827:
	s_mov_b32 s27, 0
.LBB7_828:
                                        ; implicit-def: $vgpr4
.LBB7_829:
	s_and_not1_b32 s28, s45, exec_lo
	s_and_b32 s0, s0, exec_lo
	s_and_not1_b32 s29, s44, exec_lo
	s_and_b32 s26, s26, exec_lo
	s_or_b32 s30, s28, s0
	s_or_b32 s0, s29, s26
	s_or_not1_b32 s29, s27, exec_lo
.LBB7_830:
	s_wait_xcnt 0x0
	s_or_b32 exec_lo, exec_lo, s47
	s_mov_b32 s27, 0
	s_mov_b32 s26, 0
	;; [unrolled: 1-line block ×3, first 2 shown]
                                        ; implicit-def: $vgpr0_vgpr1
                                        ; implicit-def: $vgpr2
                                        ; implicit-def: $vgpr6_vgpr7
	s_and_saveexec_b32 s31, s29
	s_cbranch_execz .LBB7_932
; %bb.831:
	v_cmp_gt_i32_e32 vcc_lo, s38, v4
	s_mov_b32 s29, s0
                                        ; implicit-def: $vgpr0_vgpr1
                                        ; implicit-def: $vgpr2
                                        ; implicit-def: $vgpr6_vgpr7
	s_and_saveexec_b32 s38, vcc_lo
	s_cbranch_execz .LBB7_931
; %bb.832:
	s_and_not1_b32 vcc_lo, exec_lo, s35
	s_cbranch_vccnz .LBB7_838
; %bb.833:
	s_and_not1_b32 vcc_lo, exec_lo, s40
	s_cbranch_vccnz .LBB7_839
; %bb.834:
	s_add_co_i32 s39, s39, 1
	s_cmp_eq_u32 s33, 2
	s_cbranch_scc1 .LBB7_840
; %bb.835:
	v_dual_mov_b32 v2, 0 :: v_dual_mov_b32 v0, 0
	v_mov_b32_e32 v1, v4
	s_and_b32 s26, s39, 28
	s_mov_b64 s[28:29], s[2:3]
.LBB7_836:                              ; =>This Inner Loop Header: Depth=1
	s_clause 0x1
	s_load_b256 s[48:55], s[28:29], 0x4
	s_load_b128 s[64:67], s[28:29], 0x24
	s_load_b256 s[56:63], s[24:25], 0x0
	s_add_co_i32 s27, s27, 4
	s_wait_xcnt 0x0
	s_add_nc_u64 s[28:29], s[28:29], 48
	s_cmp_eq_u32 s26, s27
	s_add_nc_u64 s[24:25], s[24:25], 32
	s_wait_kmcnt 0x0
	v_mul_hi_u32 v3, s49, v1
	s_delay_alu instid0(VALU_DEP_1) | instskip(NEXT) | instid1(VALU_DEP_1)
	v_add_nc_u32_e32 v3, v1, v3
	v_lshrrev_b32_e32 v3, s50, v3
	s_delay_alu instid0(VALU_DEP_1) | instskip(NEXT) | instid1(VALU_DEP_1)
	v_mul_hi_u32 v5, s52, v3
	v_add_nc_u32_e32 v5, v3, v5
	s_delay_alu instid0(VALU_DEP_1) | instskip(SKIP_1) | instid1(VALU_DEP_1)
	v_lshrrev_b32_e32 v5, s53, v5
	s_wait_loadcnt 0x0
	v_mul_hi_u32 v6, s55, v5
	s_delay_alu instid0(VALU_DEP_1) | instskip(SKIP_1) | instid1(VALU_DEP_1)
	v_add_nc_u32_e32 v6, v5, v6
	v_mul_lo_u32 v7, v3, s48
	v_sub_nc_u32_e32 v1, v1, v7
	v_mul_lo_u32 v7, v5, s51
	s_delay_alu instid0(VALU_DEP_4) | instskip(NEXT) | instid1(VALU_DEP_3)
	v_lshrrev_b32_e32 v6, s64, v6
	v_mad_u32 v0, v1, s57, v0
	v_mad_u32 v1, v1, s56, v2
	s_delay_alu instid0(VALU_DEP_4) | instskip(NEXT) | instid1(VALU_DEP_4)
	v_sub_nc_u32_e32 v2, v3, v7
	v_mul_hi_u32 v8, s66, v6
	v_mul_lo_u32 v3, v6, s54
	s_delay_alu instid0(VALU_DEP_3) | instskip(SKIP_1) | instid1(VALU_DEP_3)
	v_mad_u32 v0, v2, s59, v0
	v_mad_u32 v2, v2, s58, v1
	v_dual_add_nc_u32 v7, v6, v8 :: v_dual_sub_nc_u32 v3, v5, v3
	s_delay_alu instid0(VALU_DEP_1) | instskip(NEXT) | instid1(VALU_DEP_2)
	v_lshrrev_b32_e32 v1, s67, v7
	v_mad_u32 v0, v3, s61, v0
	s_delay_alu instid0(VALU_DEP_4) | instskip(NEXT) | instid1(VALU_DEP_3)
	v_mad_u32 v2, v3, s60, v2
	v_mul_lo_u32 v5, v1, s65
	s_delay_alu instid0(VALU_DEP_1) | instskip(NEXT) | instid1(VALU_DEP_1)
	v_sub_nc_u32_e32 v3, v6, v5
	v_mad_u32 v0, v3, s63, v0
	s_delay_alu instid0(VALU_DEP_4)
	v_mad_u32 v2, v3, s62, v2
	s_cbranch_scc0 .LBB7_836
; %bb.837:
	s_delay_alu instid0(VALU_DEP_2)
	v_mov_b32_e32 v3, v0
	s_branch .LBB7_841
.LBB7_838:
	s_mov_b32 s24, -1
                                        ; implicit-def: $vgpr0
                                        ; implicit-def: $vgpr2
	s_branch .LBB7_846
.LBB7_839:
	v_dual_mov_b32 v0, 0 :: v_dual_mov_b32 v2, 0
	s_branch .LBB7_845
.LBB7_840:
	v_mov_b64_e32 v[2:3], 0
	v_mov_b32_e32 v1, v4
                                        ; implicit-def: $vgpr0
.LBB7_841:
	s_and_b32 s28, s39, 3
	s_mov_b32 s27, 0
	s_cmp_eq_u32 s28, 0
	s_cbranch_scc1 .LBB7_845
; %bb.842:
	s_lshl_b32 s24, s26, 3
	s_mov_b32 s25, s27
	s_mul_u64 s[26:27], s[26:27], 12
	s_add_nc_u64 s[24:25], s[2:3], s[24:25]
	s_add_nc_u64 s[26:27], s[2:3], s[26:27]
	;; [unrolled: 1-line block ×3, first 2 shown]
.LBB7_843:                              ; =>This Inner Loop Header: Depth=1
	s_load_b96 s[48:50], s[26:27], 0x4
	s_add_co_i32 s28, s28, -1
	s_wait_xcnt 0x0
	s_add_nc_u64 s[26:27], s[26:27], 12
	s_cmp_lg_u32 s28, 0
	s_wait_kmcnt 0x0
	v_mul_hi_u32 v0, s49, v1
	s_delay_alu instid0(VALU_DEP_1) | instskip(NEXT) | instid1(VALU_DEP_1)
	v_add_nc_u32_e32 v0, v1, v0
	v_lshrrev_b32_e32 v0, s50, v0
	s_load_b64 s[50:51], s[24:25], 0x0
	s_wait_xcnt 0x0
	s_add_nc_u64 s[24:25], s[24:25], 8
	s_delay_alu instid0(VALU_DEP_1) | instskip(NEXT) | instid1(VALU_DEP_1)
	v_mul_lo_u32 v5, v0, s48
	v_sub_nc_u32_e32 v1, v1, v5
	s_wait_kmcnt 0x0
	s_delay_alu instid0(VALU_DEP_1)
	v_mad_u32 v3, v1, s51, v3
	v_mad_u32 v2, v1, s50, v2
	v_mov_b32_e32 v1, v0
	s_cbranch_scc1 .LBB7_843
; %bb.844:
	s_delay_alu instid0(VALU_DEP_3)
	v_mov_b32_e32 v0, v3
.LBB7_845:
	s_mov_b32 s24, 0
.LBB7_846:
	s_delay_alu instid0(SALU_CYCLE_1)
	s_and_not1_b32 vcc_lo, exec_lo, s24
	s_cbranch_vccnz .LBB7_849
; %bb.847:
	v_mov_b32_e32 v5, 0
	s_and_not1_b32 vcc_lo, exec_lo, s37
	s_delay_alu instid0(VALU_DEP_1) | instskip(NEXT) | instid1(VALU_DEP_1)
	v_mul_u64_e32 v[0:1], s[20:21], v[4:5]
	v_add_nc_u32_e32 v0, v4, v1
	s_wait_loadcnt 0x0
	s_delay_alu instid0(VALU_DEP_1) | instskip(NEXT) | instid1(VALU_DEP_1)
	v_lshrrev_b32_e32 v6, s10, v0
	v_mul_lo_u32 v0, v6, s8
	s_delay_alu instid0(VALU_DEP_1) | instskip(NEXT) | instid1(VALU_DEP_1)
	v_sub_nc_u32_e32 v1, v4, v0
	v_mul_lo_u32 v0, v1, s13
	v_mul_lo_u32 v2, v1, s12
	s_cbranch_vccnz .LBB7_849
; %bb.848:
	v_mov_b32_e32 v7, v5
	s_delay_alu instid0(VALU_DEP_1) | instskip(NEXT) | instid1(VALU_DEP_1)
	v_mul_u64_e32 v[4:5], s[22:23], v[6:7]
	v_add_nc_u32_e32 v1, v6, v5
	s_delay_alu instid0(VALU_DEP_1) | instskip(NEXT) | instid1(VALU_DEP_1)
	v_lshrrev_b32_e32 v1, s1, v1
	v_mul_lo_u32 v1, v1, s11
	s_delay_alu instid0(VALU_DEP_1) | instskip(NEXT) | instid1(VALU_DEP_1)
	v_sub_nc_u32_e32 v1, v6, v1
	v_mad_u32 v2, v1, s14, v2
	v_mad_u32 v0, v1, s15, v0
.LBB7_849:
	v_mov_b32_e32 v1, 0
	s_and_b32 s1, 0xffff, s9
	s_delay_alu instid0(SALU_CYCLE_1) | instskip(NEXT) | instid1(VALU_DEP_1)
	s_cmp_lt_i32 s1, 11
	v_add_nc_u64_e32 v[0:1], s[6:7], v[0:1]
	s_cbranch_scc1 .LBB7_856
; %bb.850:
	s_cmp_gt_i32 s1, 25
	s_mov_b32 s7, 0
	s_cbranch_scc0 .LBB7_857
; %bb.851:
	s_cmp_gt_i32 s1, 28
	s_cbranch_scc0 .LBB7_858
; %bb.852:
	s_cmp_gt_i32 s1, 43
	;; [unrolled: 3-line block ×3, first 2 shown]
	s_cbranch_scc0 .LBB7_862
; %bb.854:
	s_cmp_eq_u32 s1, 46
	s_mov_b32 s10, 0
	s_cbranch_scc0 .LBB7_865
; %bb.855:
	global_load_b32 v3, v[0:1], off
	s_mov_b32 s6, 0
	s_mov_b32 s8, -1
	s_wait_loadcnt 0x0
	v_lshlrev_b32_e32 v3, 16, v3
	s_delay_alu instid0(VALU_DEP_1)
	v_cvt_f64_f32_e32 v[6:7], v3
	s_branch .LBB7_867
.LBB7_856:
	s_mov_b32 s1, -1
	s_mov_b32 s8, 0
	s_mov_b32 s7, 0
	;; [unrolled: 1-line block ×3, first 2 shown]
                                        ; implicit-def: $vgpr6_vgpr7
	s_branch .LBB7_930
.LBB7_857:
	s_mov_b32 s10, -1
	s_mov_b32 s8, 0
	s_mov_b32 s6, s0
                                        ; implicit-def: $vgpr6_vgpr7
	s_branch .LBB7_896
.LBB7_858:
	s_mov_b32 s10, -1
	s_mov_b32 s8, 0
	s_mov_b32 s6, s0
                                        ; implicit-def: $vgpr6_vgpr7
	s_branch .LBB7_877
.LBB7_859:
	s_mov_b32 s10, -1
	s_mov_b32 s8, 0
	s_mov_b32 s6, s0
                                        ; implicit-def: $vgpr6_vgpr7
	s_branch .LBB7_872
.LBB7_860:
	s_and_not1_saveexec_b32 s31, s31
	s_cbranch_execz .LBB7_738
.LBB7_861:
	v_add_f32_e64 v3, 0x46000000, |v2|
	s_and_not1_b32 s30, s30, exec_lo
	s_delay_alu instid0(VALU_DEP_1) | instskip(NEXT) | instid1(VALU_DEP_1)
	v_and_b32_e32 v3, 0xff, v3
	v_cmp_ne_u32_e32 vcc_lo, 0, v3
	s_and_b32 s48, vcc_lo, exec_lo
	s_delay_alu instid0(SALU_CYCLE_1)
	s_or_b32 s30, s30, s48
	s_or_b32 exec_lo, exec_lo, s31
	v_mov_b32_e32 v5, 0
	s_and_saveexec_b32 s31, s30
	s_cbranch_execnz .LBB7_739
	s_branch .LBB7_740
.LBB7_862:
	s_mov_b32 s10, -1
	s_mov_b32 s8, 0
	s_mov_b32 s6, s0
	s_branch .LBB7_866
.LBB7_863:
	s_and_not1_saveexec_b32 s31, s31
	s_cbranch_execz .LBB7_751
.LBB7_864:
	v_add_f32_e64 v3, 0x42800000, |v2|
	s_and_not1_b32 s30, s30, exec_lo
	s_delay_alu instid0(VALU_DEP_1) | instskip(NEXT) | instid1(VALU_DEP_1)
	v_and_b32_e32 v3, 0xff, v3
	v_cmp_ne_u32_e32 vcc_lo, 0, v3
	s_and_b32 s48, vcc_lo, exec_lo
	s_delay_alu instid0(SALU_CYCLE_1)
	s_or_b32 s30, s30, s48
	s_or_b32 exec_lo, exec_lo, s31
	v_mov_b32_e32 v5, 0
	s_and_saveexec_b32 s31, s30
	s_cbranch_execnz .LBB7_752
	s_branch .LBB7_753
.LBB7_865:
	s_mov_b32 s6, -1
	s_mov_b32 s8, 0
.LBB7_866:
                                        ; implicit-def: $vgpr6_vgpr7
.LBB7_867:
	s_and_b32 vcc_lo, exec_lo, s10
	s_cbranch_vccz .LBB7_871
; %bb.868:
	s_cmp_eq_u32 s1, 44
	s_cbranch_scc0 .LBB7_870
; %bb.869:
	global_load_u8 v3, v[0:1], off
	s_mov_b32 s6, 0
	s_mov_b32 s8, -1
	s_wait_loadcnt 0x0
	v_cmp_ne_u32_e32 vcc_lo, 0xff, v3
	v_lshlrev_b32_e32 v4, 23, v3
	s_delay_alu instid0(VALU_DEP_1) | instskip(NEXT) | instid1(VALU_DEP_1)
	v_cvt_f64_f32_e32 v[4:5], v4
	v_cndmask_b32_e32 v4, 0x20000000, v4, vcc_lo
	s_delay_alu instid0(VALU_DEP_2) | instskip(SKIP_1) | instid1(VALU_DEP_2)
	v_cndmask_b32_e32 v5, 0x7ff80000, v5, vcc_lo
	v_cmp_ne_u32_e32 vcc_lo, 0, v3
	v_cndmask_b32_e32 v7, 0x38000000, v5, vcc_lo
	s_delay_alu instid0(VALU_DEP_4)
	v_cndmask_b32_e32 v6, 0, v4, vcc_lo
	s_branch .LBB7_871
.LBB7_870:
	s_mov_b32 s6, -1
                                        ; implicit-def: $vgpr6_vgpr7
.LBB7_871:
	s_mov_b32 s10, 0
.LBB7_872:
	s_delay_alu instid0(SALU_CYCLE_1)
	s_and_b32 vcc_lo, exec_lo, s10
	s_cbranch_vccz .LBB7_876
; %bb.873:
	s_cmp_eq_u32 s1, 29
	s_cbranch_scc0 .LBB7_875
; %bb.874:
	global_load_b64 v[4:5], v[0:1], off
	s_mov_b32 s6, 0
	s_mov_b32 s8, -1
	s_mov_b32 s10, 0
	s_wait_loadcnt 0x0
	v_cvt_f64_u32_e32 v[6:7], v5
	v_cvt_f64_u32_e32 v[4:5], v4
	s_delay_alu instid0(VALU_DEP_2) | instskip(NEXT) | instid1(VALU_DEP_1)
	v_ldexp_f64 v[6:7], v[6:7], 32
	v_add_f64_e32 v[6:7], v[6:7], v[4:5]
	s_branch .LBB7_877
.LBB7_875:
	s_mov_b32 s6, -1
                                        ; implicit-def: $vgpr6_vgpr7
.LBB7_876:
	s_mov_b32 s10, 0
.LBB7_877:
	s_delay_alu instid0(SALU_CYCLE_1)
	s_and_b32 vcc_lo, exec_lo, s10
	s_cbranch_vccz .LBB7_895
; %bb.878:
	s_cmp_lt_i32 s1, 27
	s_cbranch_scc1 .LBB7_881
; %bb.879:
	s_cmp_gt_i32 s1, 27
	s_cbranch_scc0 .LBB7_882
; %bb.880:
	global_load_b32 v3, v[0:1], off
	s_mov_b32 s8, 0
	s_wait_loadcnt 0x0
	v_cvt_f64_u32_e32 v[6:7], v3
	s_branch .LBB7_883
.LBB7_881:
	s_mov_b32 s8, -1
                                        ; implicit-def: $vgpr6_vgpr7
	s_branch .LBB7_886
.LBB7_882:
	s_mov_b32 s8, -1
                                        ; implicit-def: $vgpr6_vgpr7
.LBB7_883:
	s_delay_alu instid0(SALU_CYCLE_1)
	s_and_not1_b32 vcc_lo, exec_lo, s8
	s_cbranch_vccnz .LBB7_885
; %bb.884:
	global_load_u16 v3, v[0:1], off
	s_wait_loadcnt 0x0
	v_cvt_f64_u32_e32 v[6:7], v3
.LBB7_885:
	s_mov_b32 s8, 0
.LBB7_886:
	s_delay_alu instid0(SALU_CYCLE_1)
	s_and_not1_b32 vcc_lo, exec_lo, s8
	s_cbranch_vccnz .LBB7_894
; %bb.887:
	global_load_u8 v3, v[0:1], off
	s_mov_b32 s8, 0
	s_mov_b32 s10, exec_lo
	s_wait_loadcnt 0x0
	v_cmpx_lt_i16_e32 0x7f, v3
	s_xor_b32 s10, exec_lo, s10
	s_cbranch_execz .LBB7_908
; %bb.888:
	s_mov_b32 s8, -1
	s_mov_b32 s11, exec_lo
	v_cmpx_eq_u16_e32 0x80, v3
; %bb.889:
	s_xor_b32 s8, exec_lo, -1
; %bb.890:
	s_or_b32 exec_lo, exec_lo, s11
	s_delay_alu instid0(SALU_CYCLE_1)
	s_and_b32 s8, s8, exec_lo
	s_or_saveexec_b32 s10, s10
	v_mov_b64_e32 v[6:7], 0x7ff8000020000000
	s_xor_b32 exec_lo, exec_lo, s10
	s_cbranch_execnz .LBB7_909
.LBB7_891:
	s_or_b32 exec_lo, exec_lo, s10
	s_and_saveexec_b32 s10, s8
	s_cbranch_execz .LBB7_893
.LBB7_892:
	v_and_b32_e32 v4, 0xffff, v3
	s_delay_alu instid0(VALU_DEP_1) | instskip(SKIP_1) | instid1(VALU_DEP_2)
	v_and_b32_e32 v5, 7, v4
	v_bfe_u32 v8, v4, 3, 4
	v_clz_i32_u32_e32 v6, v5
	s_delay_alu instid0(VALU_DEP_2) | instskip(NEXT) | instid1(VALU_DEP_2)
	v_cmp_eq_u32_e32 vcc_lo, 0, v8
	v_min_u32_e32 v6, 32, v6
	s_delay_alu instid0(VALU_DEP_1) | instskip(NEXT) | instid1(VALU_DEP_1)
	v_subrev_nc_u32_e32 v7, 28, v6
	v_dual_lshlrev_b32 v4, v7, v4 :: v_dual_sub_nc_u32 v6, 29, v6
	s_delay_alu instid0(VALU_DEP_1) | instskip(NEXT) | instid1(VALU_DEP_1)
	v_dual_lshlrev_b32 v3, 24, v3 :: v_dual_bitop2_b32 v4, 7, v4 bitop3:0x40
	v_dual_cndmask_b32 v6, v8, v6, vcc_lo :: v_dual_cndmask_b32 v4, v5, v4, vcc_lo
	s_delay_alu instid0(VALU_DEP_2) | instskip(NEXT) | instid1(VALU_DEP_2)
	v_and_b32_e32 v3, 0x80000000, v3
	v_lshl_add_u32 v5, v6, 23, 0x3b800000
	s_delay_alu instid0(VALU_DEP_3) | instskip(NEXT) | instid1(VALU_DEP_1)
	v_lshlrev_b32_e32 v4, 20, v4
	v_or3_b32 v3, v3, v5, v4
	s_delay_alu instid0(VALU_DEP_1)
	v_cvt_f64_f32_e32 v[6:7], v3
.LBB7_893:
	s_or_b32 exec_lo, exec_lo, s10
.LBB7_894:
	s_mov_b32 s8, -1
.LBB7_895:
	s_mov_b32 s10, 0
.LBB7_896:
	s_delay_alu instid0(SALU_CYCLE_1)
	s_and_b32 vcc_lo, exec_lo, s10
	s_cbranch_vccz .LBB7_929
; %bb.897:
	s_cmp_gt_i32 s1, 22
	s_cbranch_scc0 .LBB7_907
; %bb.898:
	s_cmp_lt_i32 s1, 24
	s_cbranch_scc1 .LBB7_910
; %bb.899:
	s_cmp_gt_i32 s1, 24
	s_cbranch_scc0 .LBB7_911
; %bb.900:
	global_load_u8 v3, v[0:1], off
	s_mov_b32 s8, exec_lo
	s_wait_loadcnt 0x0
	v_cmpx_lt_i16_e32 0x7f, v3
	s_xor_b32 s8, exec_lo, s8
	s_cbranch_execz .LBB7_923
; %bb.901:
	s_mov_b32 s7, -1
	s_mov_b32 s10, exec_lo
	v_cmpx_eq_u16_e32 0x80, v3
; %bb.902:
	s_xor_b32 s7, exec_lo, -1
; %bb.903:
	s_or_b32 exec_lo, exec_lo, s10
	s_delay_alu instid0(SALU_CYCLE_1)
	s_and_b32 s7, s7, exec_lo
	s_or_saveexec_b32 s8, s8
	v_mov_b64_e32 v[6:7], 0x7ff8000020000000
	s_xor_b32 exec_lo, exec_lo, s8
	s_cbranch_execnz .LBB7_924
.LBB7_904:
	s_or_b32 exec_lo, exec_lo, s8
	s_and_saveexec_b32 s8, s7
	s_cbranch_execz .LBB7_906
.LBB7_905:
	v_and_b32_e32 v4, 0xffff, v3
	s_delay_alu instid0(VALU_DEP_1) | instskip(SKIP_1) | instid1(VALU_DEP_2)
	v_and_b32_e32 v5, 3, v4
	v_bfe_u32 v8, v4, 2, 5
	v_clz_i32_u32_e32 v6, v5
	s_delay_alu instid0(VALU_DEP_2) | instskip(NEXT) | instid1(VALU_DEP_2)
	v_cmp_eq_u32_e32 vcc_lo, 0, v8
	v_min_u32_e32 v6, 32, v6
	s_delay_alu instid0(VALU_DEP_1) | instskip(NEXT) | instid1(VALU_DEP_1)
	v_subrev_nc_u32_e32 v7, 29, v6
	v_dual_lshlrev_b32 v4, v7, v4 :: v_dual_sub_nc_u32 v6, 30, v6
	s_delay_alu instid0(VALU_DEP_1) | instskip(NEXT) | instid1(VALU_DEP_1)
	v_dual_lshlrev_b32 v3, 24, v3 :: v_dual_bitop2_b32 v4, 3, v4 bitop3:0x40
	v_dual_cndmask_b32 v6, v8, v6, vcc_lo :: v_dual_cndmask_b32 v4, v5, v4, vcc_lo
	s_delay_alu instid0(VALU_DEP_2) | instskip(NEXT) | instid1(VALU_DEP_2)
	v_and_b32_e32 v3, 0x80000000, v3
	v_lshl_add_u32 v5, v6, 23, 0x37800000
	s_delay_alu instid0(VALU_DEP_3) | instskip(NEXT) | instid1(VALU_DEP_1)
	v_lshlrev_b32_e32 v4, 21, v4
	v_or3_b32 v3, v3, v5, v4
	s_delay_alu instid0(VALU_DEP_1)
	v_cvt_f64_f32_e32 v[6:7], v3
.LBB7_906:
	s_or_b32 exec_lo, exec_lo, s8
	s_mov_b32 s7, 0
	s_branch .LBB7_912
.LBB7_907:
	s_mov_b32 s7, -1
                                        ; implicit-def: $vgpr6_vgpr7
	s_branch .LBB7_918
.LBB7_908:
	s_or_saveexec_b32 s10, s10
	v_mov_b64_e32 v[6:7], 0x7ff8000020000000
	s_xor_b32 exec_lo, exec_lo, s10
	s_cbranch_execz .LBB7_891
.LBB7_909:
	v_cmp_ne_u16_e32 vcc_lo, 0, v3
	v_mov_b64_e32 v[6:7], 0
	s_and_not1_b32 s8, s8, exec_lo
	s_and_b32 s11, vcc_lo, exec_lo
	s_delay_alu instid0(SALU_CYCLE_1)
	s_or_b32 s8, s8, s11
	s_or_b32 exec_lo, exec_lo, s10
	s_and_saveexec_b32 s10, s8
	s_cbranch_execnz .LBB7_892
	s_branch .LBB7_893
.LBB7_910:
	s_mov_b32 s7, -1
                                        ; implicit-def: $vgpr6_vgpr7
	s_branch .LBB7_915
.LBB7_911:
	s_mov_b32 s7, -1
                                        ; implicit-def: $vgpr6_vgpr7
.LBB7_912:
	s_delay_alu instid0(SALU_CYCLE_1)
	s_and_b32 vcc_lo, exec_lo, s7
	s_cbranch_vccz .LBB7_914
; %bb.913:
	global_load_u8 v3, v[0:1], off
	s_wait_loadcnt 0x0
	v_lshlrev_b32_e32 v3, 24, v3
	s_delay_alu instid0(VALU_DEP_1) | instskip(NEXT) | instid1(VALU_DEP_1)
	v_and_b32_e32 v4, 0x7f000000, v3
	v_clz_i32_u32_e32 v5, v4
	v_cmp_ne_u32_e32 vcc_lo, 0, v4
	v_add_nc_u32_e32 v7, 0x1000000, v4
	s_delay_alu instid0(VALU_DEP_3) | instskip(NEXT) | instid1(VALU_DEP_1)
	v_min_u32_e32 v5, 32, v5
	v_sub_nc_u32_e64 v5, v5, 4 clamp
	s_delay_alu instid0(VALU_DEP_1) | instskip(NEXT) | instid1(VALU_DEP_1)
	v_dual_lshlrev_b32 v6, v5, v4 :: v_dual_lshlrev_b32 v5, 23, v5
	v_lshrrev_b32_e32 v6, 4, v6
	s_delay_alu instid0(VALU_DEP_1) | instskip(NEXT) | instid1(VALU_DEP_1)
	v_dual_sub_nc_u32 v5, v6, v5 :: v_dual_ashrrev_i32 v6, 8, v7
	v_add_nc_u32_e32 v5, 0x3c000000, v5
	s_delay_alu instid0(VALU_DEP_1) | instskip(NEXT) | instid1(VALU_DEP_1)
	v_and_or_b32 v5, 0x7f800000, v6, v5
	v_cndmask_b32_e32 v4, 0, v5, vcc_lo
	s_delay_alu instid0(VALU_DEP_1) | instskip(NEXT) | instid1(VALU_DEP_1)
	v_and_or_b32 v3, 0x80000000, v3, v4
	v_cvt_f64_f32_e32 v[6:7], v3
.LBB7_914:
	s_mov_b32 s7, 0
.LBB7_915:
	s_delay_alu instid0(SALU_CYCLE_1)
	s_and_not1_b32 vcc_lo, exec_lo, s7
	s_cbranch_vccnz .LBB7_917
; %bb.916:
	global_load_u8 v3, v[0:1], off
	s_wait_loadcnt 0x0
	v_lshlrev_b32_e32 v4, 25, v3
	v_lshlrev_b16 v3, 8, v3
	s_delay_alu instid0(VALU_DEP_1) | instskip(SKIP_1) | instid1(VALU_DEP_2)
	v_and_or_b32 v6, 0x7f00, v3, 0.5
	v_bfe_i32 v3, v3, 0, 16
	v_dual_add_f32 v6, -0.5, v6 :: v_dual_lshrrev_b32 v5, 4, v4
	v_cmp_gt_u32_e32 vcc_lo, 0x8000000, v4
	s_delay_alu instid0(VALU_DEP_2) | instskip(NEXT) | instid1(VALU_DEP_1)
	v_or_b32_e32 v5, 0x70000000, v5
	v_mul_f32_e32 v5, 0x7800000, v5
	s_delay_alu instid0(VALU_DEP_1) | instskip(NEXT) | instid1(VALU_DEP_1)
	v_cndmask_b32_e32 v4, v5, v6, vcc_lo
	v_and_or_b32 v3, 0x80000000, v3, v4
	s_delay_alu instid0(VALU_DEP_1)
	v_cvt_f64_f32_e32 v[6:7], v3
.LBB7_917:
	s_mov_b32 s7, 0
	s_mov_b32 s8, -1
.LBB7_918:
	s_and_not1_b32 vcc_lo, exec_lo, s7
	s_mov_b32 s7, 0
	s_cbranch_vccnz .LBB7_929
; %bb.919:
	s_cmp_gt_i32 s1, 14
	s_cbranch_scc0 .LBB7_922
; %bb.920:
	s_cmp_eq_u32 s1, 15
	s_cbranch_scc0 .LBB7_925
; %bb.921:
	global_load_u16 v3, v[0:1], off
	s_mov_b32 s6, 0
	s_mov_b32 s8, -1
	s_wait_loadcnt 0x0
	v_lshlrev_b32_e32 v3, 16, v3
	s_delay_alu instid0(VALU_DEP_1)
	v_cvt_f64_f32_e32 v[6:7], v3
	s_branch .LBB7_927
.LBB7_922:
	s_mov_b32 s7, -1
	s_branch .LBB7_926
.LBB7_923:
	s_or_saveexec_b32 s8, s8
	v_mov_b64_e32 v[6:7], 0x7ff8000020000000
	s_xor_b32 exec_lo, exec_lo, s8
	s_cbranch_execz .LBB7_904
.LBB7_924:
	v_cmp_ne_u16_e32 vcc_lo, 0, v3
	v_mov_b64_e32 v[6:7], 0
	s_and_not1_b32 s7, s7, exec_lo
	s_and_b32 s10, vcc_lo, exec_lo
	s_delay_alu instid0(SALU_CYCLE_1)
	s_or_b32 s7, s7, s10
	s_or_b32 exec_lo, exec_lo, s8
	s_and_saveexec_b32 s8, s7
	s_cbranch_execnz .LBB7_905
	s_branch .LBB7_906
.LBB7_925:
	s_mov_b32 s6, -1
.LBB7_926:
                                        ; implicit-def: $vgpr6_vgpr7
.LBB7_927:
	s_and_b32 vcc_lo, exec_lo, s7
	s_mov_b32 s7, 0
	s_cbranch_vccz .LBB7_929
; %bb.928:
	s_cmp_lg_u32 s1, 11
	s_mov_b32 s7, -1
	s_cselect_b32 s1, -1, 0
	s_and_not1_b32 s6, s6, exec_lo
	s_and_b32 s1, s1, exec_lo
	s_delay_alu instid0(SALU_CYCLE_1)
	s_or_b32 s6, s6, s1
.LBB7_929:
	s_mov_b32 s1, 0
.LBB7_930:
	s_delay_alu instid0(SALU_CYCLE_1)
	s_and_b32 s26, s1, exec_lo
	s_and_not1_b32 s1, s0, exec_lo
	s_and_b32 s6, s6, exec_lo
	s_and_b32 s28, s8, exec_lo
	;; [unrolled: 1-line block ×3, first 2 shown]
	s_or_b32 s29, s1, s6
.LBB7_931:
	s_wait_xcnt 0x0
	s_or_b32 exec_lo, exec_lo, s38
	s_delay_alu instid0(SALU_CYCLE_1)
	s_and_not1_b32 s0, s0, exec_lo
	s_and_b32 s1, s29, exec_lo
	s_and_b32 s28, s28, exec_lo
	;; [unrolled: 1-line block ×4, first 2 shown]
	s_or_b32 s0, s0, s1
.LBB7_932:
	s_or_b32 exec_lo, exec_lo, s31
	s_delay_alu instid0(SALU_CYCLE_1)
	s_and_not1_b32 s1, s45, exec_lo
	s_and_b32 s6, s30, exec_lo
	s_and_b32 s0, s0, exec_lo
	s_or_b32 s45, s1, s6
	s_and_not1_b32 s1, s44, exec_lo
	s_and_b32 s28, s28, exec_lo
	s_and_b32 s26, s26, exec_lo
	;; [unrolled: 1-line block ×3, first 2 shown]
	s_or_b32 s44, s1, s0
.LBB7_933:
	s_or_b32 exec_lo, exec_lo, s46
	s_delay_alu instid0(SALU_CYCLE_1)
	s_and_not1_b32 s0, s41, exec_lo
	s_and_b32 s1, s45, exec_lo
	s_and_b32 s6, s44, exec_lo
	s_or_b32 s41, s0, s1
	s_and_not1_b32 s1, s42, exec_lo
	s_and_b32 s0, s28, exec_lo
	s_and_b32 s26, s26, exec_lo
	;; [unrolled: 1-line block ×3, first 2 shown]
	s_or_b32 s42, s1, s6
	s_or_b32 exec_lo, exec_lo, s43
	s_mov_b32 s1, 0
	s_and_saveexec_b32 s6, s42
	s_cbranch_execz .LBB7_278
.LBB7_934:
	s_mov_b32 s1, exec_lo
	s_and_not1_b32 s21, s21, exec_lo
	s_trap 2
	s_or_b32 exec_lo, exec_lo, s6
	s_and_saveexec_b32 s6, s21
	s_delay_alu instid0(SALU_CYCLE_1)
	s_xor_b32 s6, exec_lo, s6
	s_cbranch_execnz .LBB7_279
.LBB7_935:
	s_or_b32 exec_lo, exec_lo, s6
	s_and_saveexec_b32 s6, s26
	s_cbranch_execz .LBB7_981
.LBB7_936:
	s_sext_i32_i16 s7, s9
	s_delay_alu instid0(SALU_CYCLE_1)
	s_cmp_lt_i32 s7, 5
	s_cbranch_scc1 .LBB7_941
; %bb.937:
	s_cmp_lt_i32 s7, 8
	s_cbranch_scc1 .LBB7_942
; %bb.938:
	;; [unrolled: 3-line block ×3, first 2 shown]
	s_cmp_gt_i32 s7, 9
	s_cbranch_scc0 .LBB7_944
; %bb.940:
	s_wait_loadcnt 0x0
	global_load_b64 v[6:7], v[0:1], off
	s_mov_b32 s7, 0
	s_branch .LBB7_945
.LBB7_941:
                                        ; implicit-def: $vgpr6_vgpr7
	s_branch .LBB7_962
.LBB7_942:
                                        ; implicit-def: $vgpr6_vgpr7
	s_branch .LBB7_951
.LBB7_943:
	s_mov_b32 s7, -1
                                        ; implicit-def: $vgpr6_vgpr7
	s_branch .LBB7_948
.LBB7_944:
	s_mov_b32 s7, -1
                                        ; implicit-def: $vgpr6_vgpr7
.LBB7_945:
	s_delay_alu instid0(SALU_CYCLE_1)
	s_and_not1_b32 vcc_lo, exec_lo, s7
	s_cbranch_vccnz .LBB7_947
; %bb.946:
	global_load_b32 v3, v[0:1], off
	s_wait_loadcnt 0x0
	v_cvt_f64_f32_e32 v[6:7], v3
.LBB7_947:
	s_mov_b32 s7, 0
.LBB7_948:
	s_delay_alu instid0(SALU_CYCLE_1)
	s_and_not1_b32 vcc_lo, exec_lo, s7
	s_cbranch_vccnz .LBB7_950
; %bb.949:
	global_load_b32 v3, v[0:1], off
	s_wait_loadcnt 0x0
	v_cvt_f32_f16_e32 v3, v3
	s_delay_alu instid0(VALU_DEP_1)
	v_cvt_f64_f32_e32 v[6:7], v3
.LBB7_950:
	s_cbranch_execnz .LBB7_961
.LBB7_951:
	s_sext_i32_i16 s7, s9
	s_delay_alu instid0(SALU_CYCLE_1)
	s_cmp_lt_i32 s7, 6
	s_cbranch_scc1 .LBB7_954
; %bb.952:
	s_cmp_gt_i32 s7, 6
	s_cbranch_scc0 .LBB7_955
; %bb.953:
	s_wait_loadcnt 0x0
	global_load_b64 v[6:7], v[0:1], off
	s_mov_b32 s7, 0
	s_branch .LBB7_956
.LBB7_954:
	s_mov_b32 s7, -1
                                        ; implicit-def: $vgpr6_vgpr7
	s_branch .LBB7_959
.LBB7_955:
	s_mov_b32 s7, -1
                                        ; implicit-def: $vgpr6_vgpr7
.LBB7_956:
	s_delay_alu instid0(SALU_CYCLE_1)
	s_and_not1_b32 vcc_lo, exec_lo, s7
	s_cbranch_vccnz .LBB7_958
; %bb.957:
	global_load_b32 v3, v[0:1], off
	s_wait_loadcnt 0x0
	v_cvt_f64_f32_e32 v[6:7], v3
.LBB7_958:
	s_mov_b32 s7, 0
.LBB7_959:
	s_delay_alu instid0(SALU_CYCLE_1)
	s_and_not1_b32 vcc_lo, exec_lo, s7
	s_cbranch_vccnz .LBB7_961
; %bb.960:
	global_load_u16 v3, v[0:1], off
	s_wait_loadcnt 0x0
	v_cvt_f32_f16_e32 v3, v3
	s_delay_alu instid0(VALU_DEP_1)
	v_cvt_f64_f32_e32 v[6:7], v3
.LBB7_961:
	s_cbranch_execnz .LBB7_980
.LBB7_962:
	s_sext_i32_i16 s7, s9
	s_delay_alu instid0(SALU_CYCLE_1)
	s_cmp_lt_i32 s7, 2
	s_cbranch_scc1 .LBB7_966
; %bb.963:
	s_cmp_lt_i32 s7, 3
	s_cbranch_scc1 .LBB7_967
; %bb.964:
	s_cmp_gt_i32 s7, 3
	s_cbranch_scc0 .LBB7_968
; %bb.965:
	global_load_b64 v[4:5], v[0:1], off
	s_mov_b32 s7, 0
	s_wait_loadcnt 0x0
	v_cvt_f64_i32_e32 v[6:7], v5
	v_cvt_f64_u32_e32 v[4:5], v4
	s_delay_alu instid0(VALU_DEP_2) | instskip(NEXT) | instid1(VALU_DEP_1)
	v_ldexp_f64 v[6:7], v[6:7], 32
	v_add_f64_e32 v[6:7], v[6:7], v[4:5]
	s_branch .LBB7_969
.LBB7_966:
                                        ; implicit-def: $vgpr6_vgpr7
	s_branch .LBB7_975
.LBB7_967:
	s_mov_b32 s7, -1
                                        ; implicit-def: $vgpr6_vgpr7
	s_branch .LBB7_972
.LBB7_968:
	s_mov_b32 s7, -1
                                        ; implicit-def: $vgpr6_vgpr7
.LBB7_969:
	s_delay_alu instid0(SALU_CYCLE_1)
	s_and_not1_b32 vcc_lo, exec_lo, s7
	s_cbranch_vccnz .LBB7_971
; %bb.970:
	global_load_b32 v3, v[0:1], off
	s_wait_loadcnt 0x0
	v_cvt_f64_i32_e32 v[6:7], v3
.LBB7_971:
	s_mov_b32 s7, 0
.LBB7_972:
	s_delay_alu instid0(SALU_CYCLE_1)
	s_and_not1_b32 vcc_lo, exec_lo, s7
	s_cbranch_vccnz .LBB7_974
; %bb.973:
	global_load_i16 v3, v[0:1], off
	s_wait_loadcnt 0x0
	v_cvt_f64_i32_e32 v[6:7], v3
.LBB7_974:
	s_cbranch_execnz .LBB7_980
.LBB7_975:
	s_sext_i32_i16 s7, s9
	s_delay_alu instid0(SALU_CYCLE_1)
	s_cmp_gt_i32 s7, 0
	s_mov_b32 s7, 0
	s_cbranch_scc0 .LBB7_977
; %bb.976:
	global_load_i8 v3, v[0:1], off
	s_wait_loadcnt 0x0
	v_cvt_f64_i32_e32 v[6:7], v3
	s_branch .LBB7_978
.LBB7_977:
	s_mov_b32 s7, -1
                                        ; implicit-def: $vgpr6_vgpr7
.LBB7_978:
	s_delay_alu instid0(SALU_CYCLE_1)
	s_and_not1_b32 vcc_lo, exec_lo, s7
	s_cbranch_vccnz .LBB7_980
; %bb.979:
	global_load_u8 v0, v[0:1], off
	s_wait_loadcnt 0x0
	v_cvt_f64_u32_e32 v[6:7], v0
.LBB7_980:
	s_or_b32 s0, s0, exec_lo
.LBB7_981:
	s_wait_xcnt 0x0
	s_or_b32 exec_lo, exec_lo, s6
	s_mov_b32 s9, 0
	s_mov_b32 s8, 0
                                        ; implicit-def: $sgpr6
                                        ; implicit-def: $vgpr4_vgpr5
                                        ; implicit-def: $vgpr0_vgpr1
	s_and_saveexec_b32 s7, s0
	s_cbranch_execz .LBB7_991
; %bb.982:
	v_mov_b64_e32 v[0:1], 1.0
	s_mov_b32 s0, exec_lo
	s_wait_loadcnt 0x0
	s_delay_alu instid0(VALU_DEP_2)
	v_cmpx_lt_f64_e32 s[16:17], v[6:7]
	s_cbranch_execz .LBB7_984
; %bb.983:
	v_add_f64_e32 v[0:1], 0x3e7ad7f29abcaf48, v[6:7]
	s_delay_alu instid0(VALU_DEP_1) | instskip(NEXT) | instid1(VALU_DEP_1)
	v_div_scale_f64 v[4:5], null, v[0:1], v[0:1], s[16:17]
	v_rcp_f64_e32 v[6:7], v[4:5]
	v_nop
	s_delay_alu instid0(TRANS32_DEP_1) | instskip(NEXT) | instid1(VALU_DEP_1)
	v_fma_f64 v[8:9], -v[4:5], v[6:7], 1.0
	v_fmac_f64_e32 v[6:7], v[6:7], v[8:9]
	s_delay_alu instid0(VALU_DEP_1) | instskip(NEXT) | instid1(VALU_DEP_1)
	v_fma_f64 v[8:9], -v[4:5], v[6:7], 1.0
	v_fmac_f64_e32 v[6:7], v[6:7], v[8:9]
	v_div_scale_f64 v[8:9], vcc_lo, s[16:17], v[0:1], s[16:17]
	s_delay_alu instid0(VALU_DEP_1) | instskip(NEXT) | instid1(VALU_DEP_1)
	v_mul_f64_e32 v[10:11], v[8:9], v[6:7]
	v_fma_f64 v[4:5], -v[4:5], v[10:11], v[8:9]
	s_delay_alu instid0(VALU_DEP_1) | instskip(NEXT) | instid1(VALU_DEP_1)
	v_div_fmas_f64 v[4:5], v[4:5], v[6:7], v[10:11]
	v_div_fixup_f64 v[0:1], v[4:5], v[0:1], s[16:17]
.LBB7_984:
	s_or_b32 exec_lo, exec_lo, s0
	v_mov_b32_e32 v3, 0
	s_and_b32 s6, s18, 0xff
	s_delay_alu instid0(SALU_CYCLE_1) | instskip(NEXT) | instid1(VALU_DEP_1)
	s_cmp_lt_i32 s6, 11
	v_add_nc_u64_e32 v[4:5], s[4:5], v[2:3]
	s_cbranch_scc1 .LBB7_994
; %bb.985:
	s_and_b32 s4, 0xffff, s6
	s_mov_b32 s5, -1
	s_cmp_gt_i32 s4, 25
	s_mov_b32 s0, s41
	s_cbranch_scc0 .LBB7_1022
; %bb.986:
	s_cmp_gt_i32 s4, 28
	s_mov_b32 s0, s41
	s_cbranch_scc0 .LBB7_1006
; %bb.987:
	;; [unrolled: 4-line block ×4, first 2 shown]
	s_cmp_eq_u32 s4, 46
	s_mov_b32 s0, -1
	s_cbranch_scc0 .LBB7_995
; %bb.990:
	s_delay_alu instid0(VALU_DEP_3) | instskip(SKIP_2) | instid1(VALU_DEP_1)
	v_cvt_f32_f64_e32 v2, v[0:1]
	s_mov_b32 s0, 0
	s_mov_b32 s5, 0
	v_bfe_u32 v3, v2, 16, 1
	v_cmp_o_f32_e32 vcc_lo, v2, v2
	s_delay_alu instid0(VALU_DEP_2) | instskip(NEXT) | instid1(VALU_DEP_1)
	v_add3_u32 v3, v2, v3, 0x7fff
	v_lshrrev_b32_e32 v3, 16, v3
	s_delay_alu instid0(VALU_DEP_1)
	v_cndmask_b32_e32 v2, 0x7fc0, v3, vcc_lo
	global_store_b32 v[4:5], v2, off
	s_branch .LBB7_996
.LBB7_991:
	s_or_b32 exec_lo, exec_lo, s7
	s_and_saveexec_b32 s0, s41
	s_cbranch_execnz .LBB7_1064
.LBB7_992:
	s_or_b32 exec_lo, exec_lo, s0
	s_and_saveexec_b32 s0, s9
	s_delay_alu instid0(SALU_CYCLE_1)
	s_xor_b32 s0, exec_lo, s0
	s_cbranch_execz .LBB7_1065
.LBB7_993:
	s_delay_alu instid0(VALU_DEP_3)
	v_cmp_neq_f64_e32 vcc_lo, 0, v[0:1]
	v_cndmask_b32_e64 v2, 0, 1, vcc_lo
	global_store_b8 v[4:5], v2, off
	s_wait_xcnt 0x0
	s_or_b32 exec_lo, exec_lo, s0
	s_and_saveexec_b32 s0, s8
	s_delay_alu instid0(SALU_CYCLE_1)
	s_xor_b32 s0, exec_lo, s0
	s_cbranch_execz .LBB7_1103
	s_branch .LBB7_1066
.LBB7_994:
	s_mov_b32 s5, -1
	s_mov_b32 s0, s41
	s_branch .LBB7_1063
.LBB7_995:
	s_mov_b32 s5, 0
.LBB7_996:
	s_delay_alu instid0(SALU_CYCLE_1)
	s_and_b32 vcc_lo, exec_lo, s5
	s_cbranch_vccz .LBB7_1001
; %bb.997:
	s_cmp_eq_u32 s4, 44
	s_mov_b32 s0, -1
	s_cbranch_scc0 .LBB7_1001
; %bb.998:
	s_wait_xcnt 0x0
	s_delay_alu instid0(VALU_DEP_3) | instskip(SKIP_2) | instid1(VALU_DEP_2)
	v_cvt_f32_f64_e32 v2, v[0:1]
	v_mov_b32_e32 v3, 0xff
	s_mov_b32 s5, exec_lo
	v_bfe_u32 v6, v2, 23, 8
	s_delay_alu instid0(VALU_DEP_1)
	v_cmpx_ne_u32_e32 0xff, v6
	s_cbranch_execz .LBB7_1000
; %bb.999:
	v_and_b32_e32 v3, 0x400000, v2
	v_and_or_b32 v6, 0x3fffff, v2, v6
	v_lshrrev_b32_e32 v2, 23, v2
	s_delay_alu instid0(VALU_DEP_3) | instskip(NEXT) | instid1(VALU_DEP_3)
	v_cmp_ne_u32_e32 vcc_lo, 0, v3
	v_cmp_ne_u32_e64 s0, 0, v6
	s_and_b32 s0, vcc_lo, s0
	s_delay_alu instid0(SALU_CYCLE_1) | instskip(NEXT) | instid1(VALU_DEP_1)
	v_cndmask_b32_e64 v3, 0, 1, s0
	v_add_nc_u32_e32 v3, v2, v3
.LBB7_1000:
	s_or_b32 exec_lo, exec_lo, s5
	s_mov_b32 s0, 0
	global_store_b8 v[4:5], v3, off
.LBB7_1001:
	s_mov_b32 s5, 0
.LBB7_1002:
	s_delay_alu instid0(SALU_CYCLE_1)
	s_and_b32 vcc_lo, exec_lo, s5
	s_cbranch_vccz .LBB7_1005
; %bb.1003:
	s_cmp_eq_u32 s4, 29
	s_mov_b32 s0, -1
	s_cbranch_scc0 .LBB7_1005
; %bb.1004:
	s_wait_xcnt 0x0
	s_delay_alu instid0(VALU_DEP_3) | instskip(SKIP_2) | instid1(VALU_DEP_1)
	v_trunc_f64_e32 v[2:3], v[0:1]
	s_mov_b32 s0, 0
	s_mov_b32 s5, 0
	v_ldexp_f64 v[6:7], v[2:3], 0xffffffe0
	s_delay_alu instid0(VALU_DEP_1) | instskip(NEXT) | instid1(VALU_DEP_1)
	v_floor_f64_e32 v[6:7], v[6:7]
	v_fmamk_f64 v[2:3], v[6:7], 0xc1f00000, v[2:3]
	v_cvt_u32_f64_e32 v7, v[6:7]
	s_delay_alu instid0(VALU_DEP_2)
	v_cvt_u32_f64_e32 v6, v[2:3]
	global_store_b64 v[4:5], v[6:7], off
	s_branch .LBB7_1006
.LBB7_1005:
	s_mov_b32 s5, 0
.LBB7_1006:
	s_delay_alu instid0(SALU_CYCLE_1)
	s_and_b32 vcc_lo, exec_lo, s5
	s_cbranch_vccz .LBB7_1021
; %bb.1007:
	s_cmp_lt_i32 s4, 27
	s_mov_b32 s5, -1
	s_cbranch_scc1 .LBB7_1013
; %bb.1008:
	s_cmp_gt_i32 s4, 27
	s_cbranch_scc0 .LBB7_1010
; %bb.1009:
	s_wait_xcnt 0x0
	s_delay_alu instid0(VALU_DEP_3)
	v_cvt_u32_f64_e32 v2, v[0:1]
	s_mov_b32 s5, 0
	global_store_b32 v[4:5], v2, off
.LBB7_1010:
	s_and_not1_b32 vcc_lo, exec_lo, s5
	s_cbranch_vccnz .LBB7_1012
; %bb.1011:
	s_wait_xcnt 0x0
	s_delay_alu instid0(VALU_DEP_3)
	v_cvt_u32_f64_e32 v2, v[0:1]
	global_store_b16 v[4:5], v2, off
.LBB7_1012:
	s_mov_b32 s5, 0
.LBB7_1013:
	s_delay_alu instid0(SALU_CYCLE_1)
	s_and_not1_b32 vcc_lo, exec_lo, s5
	s_cbranch_vccnz .LBB7_1021
; %bb.1014:
	s_wait_xcnt 0x0
	s_delay_alu instid0(VALU_DEP_3) | instskip(SKIP_2) | instid1(VALU_DEP_2)
	v_cvt_f32_f64_e32 v2, v[0:1]
	v_mov_b32_e32 v6, 0x80
	s_mov_b32 s5, exec_lo
	v_and_b32_e32 v3, 0x7fffffff, v2
	s_delay_alu instid0(VALU_DEP_1)
	v_cmpx_gt_u32_e32 0x43800000, v3
	s_cbranch_execz .LBB7_1020
; %bb.1015:
	v_cmp_lt_u32_e32 vcc_lo, 0x3bffffff, v3
                                        ; implicit-def: $vgpr3
	s_and_saveexec_b32 s9, vcc_lo
	s_delay_alu instid0(SALU_CYCLE_1)
	s_xor_b32 s9, exec_lo, s9
	s_cbranch_execz .LBB7_1178
; %bb.1016:
	v_bfe_u32 v3, v2, 20, 1
	s_mov_b32 s8, exec_lo
	s_delay_alu instid0(VALU_DEP_1) | instskip(NEXT) | instid1(VALU_DEP_1)
	v_add3_u32 v3, v2, v3, 0x487ffff
	v_lshrrev_b32_e32 v3, 20, v3
	s_and_not1_saveexec_b32 s9, s9
	s_cbranch_execnz .LBB7_1179
.LBB7_1017:
	s_or_b32 exec_lo, exec_lo, s9
	v_mov_b32_e32 v6, 0
	s_and_saveexec_b32 s9, s8
.LBB7_1018:
	v_lshrrev_b32_e32 v2, 24, v2
	s_delay_alu instid0(VALU_DEP_1)
	v_and_or_b32 v6, 0x80, v2, v3
.LBB7_1019:
	s_or_b32 exec_lo, exec_lo, s9
.LBB7_1020:
	s_delay_alu instid0(SALU_CYCLE_1)
	s_or_b32 exec_lo, exec_lo, s5
	global_store_b8 v[4:5], v6, off
.LBB7_1021:
	s_mov_b32 s5, 0
.LBB7_1022:
	s_delay_alu instid0(SALU_CYCLE_1)
	s_and_b32 vcc_lo, exec_lo, s5
	s_mov_b32 s5, 0
	s_cbranch_vccz .LBB7_1062
; %bb.1023:
	s_cmp_gt_i32 s4, 22
	s_mov_b32 s8, -1
	s_cbranch_scc0 .LBB7_1055
; %bb.1024:
	s_cmp_lt_i32 s4, 24
	s_cbranch_scc1 .LBB7_1044
; %bb.1025:
	s_cmp_gt_i32 s4, 24
	s_cbranch_scc0 .LBB7_1033
; %bb.1026:
	s_wait_xcnt 0x0
	s_delay_alu instid0(VALU_DEP_3) | instskip(SKIP_2) | instid1(VALU_DEP_2)
	v_cvt_f32_f64_e32 v2, v[0:1]
	v_mov_b32_e32 v6, 0x80
	s_mov_b32 s8, exec_lo
	v_and_b32_e32 v3, 0x7fffffff, v2
	s_delay_alu instid0(VALU_DEP_1)
	v_cmpx_gt_u32_e32 0x47800000, v3
	s_cbranch_execz .LBB7_1032
; %bb.1027:
	v_cmp_lt_u32_e32 vcc_lo, 0x37ffffff, v3
	s_mov_b32 s9, 0
                                        ; implicit-def: $vgpr3
	s_and_saveexec_b32 s10, vcc_lo
	s_delay_alu instid0(SALU_CYCLE_1)
	s_xor_b32 s10, exec_lo, s10
	s_cbranch_execz .LBB7_1306
; %bb.1028:
	v_bfe_u32 v3, v2, 21, 1
	s_mov_b32 s9, exec_lo
	s_delay_alu instid0(VALU_DEP_1) | instskip(NEXT) | instid1(VALU_DEP_1)
	v_add3_u32 v3, v2, v3, 0x88fffff
	v_lshrrev_b32_e32 v3, 21, v3
	s_and_not1_saveexec_b32 s10, s10
	s_cbranch_execnz .LBB7_1307
.LBB7_1029:
	s_or_b32 exec_lo, exec_lo, s10
	v_mov_b32_e32 v6, 0
	s_and_saveexec_b32 s10, s9
.LBB7_1030:
	v_lshrrev_b32_e32 v2, 24, v2
	s_delay_alu instid0(VALU_DEP_1)
	v_and_or_b32 v6, 0x80, v2, v3
.LBB7_1031:
	s_or_b32 exec_lo, exec_lo, s10
.LBB7_1032:
	s_delay_alu instid0(SALU_CYCLE_1)
	s_or_b32 exec_lo, exec_lo, s8
	s_mov_b32 s8, 0
	global_store_b8 v[4:5], v6, off
.LBB7_1033:
	s_and_b32 vcc_lo, exec_lo, s8
	s_cbranch_vccz .LBB7_1043
; %bb.1034:
	s_wait_xcnt 0x0
	s_delay_alu instid0(VALU_DEP_3) | instskip(SKIP_1) | instid1(VALU_DEP_1)
	v_cvt_f32_f64_e32 v2, v[0:1]
	s_mov_b32 s8, exec_lo
                                        ; implicit-def: $vgpr3
	v_and_b32_e32 v6, 0x7fffffff, v2
	s_delay_alu instid0(VALU_DEP_1)
	v_cmpx_gt_u32_e32 0x43f00000, v6
	s_xor_b32 s8, exec_lo, s8
	s_cbranch_execz .LBB7_1040
; %bb.1035:
	s_mov_b32 s9, exec_lo
                                        ; implicit-def: $vgpr3
	v_cmpx_lt_u32_e32 0x3c7fffff, v6
	s_xor_b32 s9, exec_lo, s9
; %bb.1036:
	v_bfe_u32 v3, v2, 20, 1
	s_delay_alu instid0(VALU_DEP_1) | instskip(NEXT) | instid1(VALU_DEP_1)
	v_add3_u32 v3, v2, v3, 0x407ffff
	v_and_b32_e32 v6, 0xff00000, v3
	v_lshrrev_b32_e32 v3, 20, v3
	s_delay_alu instid0(VALU_DEP_2) | instskip(NEXT) | instid1(VALU_DEP_2)
	v_cmp_ne_u32_e32 vcc_lo, 0x7f00000, v6
	v_cndmask_b32_e32 v3, 0x7e, v3, vcc_lo
; %bb.1037:
	s_and_not1_saveexec_b32 s9, s9
; %bb.1038:
	v_add_f32_e64 v3, 0x46800000, |v2|
; %bb.1039:
	s_or_b32 exec_lo, exec_lo, s9
                                        ; implicit-def: $vgpr6
.LBB7_1040:
	s_and_not1_saveexec_b32 s8, s8
; %bb.1041:
	v_mov_b32_e32 v3, 0x7f
	v_cmp_lt_u32_e32 vcc_lo, 0x7f800000, v6
	s_delay_alu instid0(VALU_DEP_2)
	v_cndmask_b32_e32 v3, 0x7e, v3, vcc_lo
; %bb.1042:
	s_or_b32 exec_lo, exec_lo, s8
	v_lshrrev_b32_e32 v2, 24, v2
	s_delay_alu instid0(VALU_DEP_1)
	v_and_or_b32 v2, 0x80, v2, v3
	global_store_b8 v[4:5], v2, off
.LBB7_1043:
	s_mov_b32 s8, 0
.LBB7_1044:
	s_delay_alu instid0(SALU_CYCLE_1)
	s_and_not1_b32 vcc_lo, exec_lo, s8
	s_cbranch_vccnz .LBB7_1054
; %bb.1045:
	s_wait_xcnt 0x0
	s_delay_alu instid0(VALU_DEP_3) | instskip(SKIP_1) | instid1(VALU_DEP_1)
	v_cvt_f32_f64_e32 v2, v[0:1]
	s_mov_b32 s8, exec_lo
                                        ; implicit-def: $vgpr3
	v_and_b32_e32 v6, 0x7fffffff, v2
	s_delay_alu instid0(VALU_DEP_1)
	v_cmpx_gt_u32_e32 0x47800000, v6
	s_xor_b32 s8, exec_lo, s8
	s_cbranch_execz .LBB7_1051
; %bb.1046:
	s_mov_b32 s9, exec_lo
                                        ; implicit-def: $vgpr3
	v_cmpx_lt_u32_e32 0x387fffff, v6
	s_xor_b32 s9, exec_lo, s9
; %bb.1047:
	v_bfe_u32 v3, v2, 21, 1
	s_delay_alu instid0(VALU_DEP_1) | instskip(NEXT) | instid1(VALU_DEP_1)
	v_add3_u32 v3, v2, v3, 0x80fffff
	v_lshrrev_b32_e32 v3, 21, v3
; %bb.1048:
	s_and_not1_saveexec_b32 s9, s9
; %bb.1049:
	v_add_f32_e64 v3, 0x43000000, |v2|
; %bb.1050:
	s_or_b32 exec_lo, exec_lo, s9
                                        ; implicit-def: $vgpr6
.LBB7_1051:
	s_and_not1_saveexec_b32 s8, s8
; %bb.1052:
	v_mov_b32_e32 v3, 0x7f
	v_cmp_lt_u32_e32 vcc_lo, 0x7f800000, v6
	s_delay_alu instid0(VALU_DEP_2)
	v_cndmask_b32_e32 v3, 0x7c, v3, vcc_lo
; %bb.1053:
	s_or_b32 exec_lo, exec_lo, s8
	v_lshrrev_b32_e32 v2, 24, v2
	s_delay_alu instid0(VALU_DEP_1)
	v_and_or_b32 v2, 0x80, v2, v3
	global_store_b8 v[4:5], v2, off
.LBB7_1054:
	s_mov_b32 s8, 0
.LBB7_1055:
	s_delay_alu instid0(SALU_CYCLE_1)
	s_and_not1_b32 vcc_lo, exec_lo, s8
	s_mov_b32 s9, 0
	s_cbranch_vccnz .LBB7_1063
; %bb.1056:
	s_cmp_gt_i32 s4, 14
	s_mov_b32 s8, -1
	s_cbranch_scc0 .LBB7_1060
; %bb.1057:
	s_cmp_eq_u32 s4, 15
	s_mov_b32 s0, -1
	s_cbranch_scc0 .LBB7_1059
; %bb.1058:
	s_wait_xcnt 0x0
	s_delay_alu instid0(VALU_DEP_3) | instskip(SKIP_1) | instid1(VALU_DEP_1)
	v_cvt_f32_f64_e32 v2, v[0:1]
	s_mov_b32 s0, 0
	v_bfe_u32 v3, v2, 16, 1
	v_cmp_o_f32_e32 vcc_lo, v2, v2
	s_delay_alu instid0(VALU_DEP_2) | instskip(NEXT) | instid1(VALU_DEP_1)
	v_add3_u32 v3, v2, v3, 0x7fff
	v_lshrrev_b32_e32 v3, 16, v3
	s_delay_alu instid0(VALU_DEP_1)
	v_cndmask_b32_e32 v2, 0x7fc0, v3, vcc_lo
	global_store_b16 v[4:5], v2, off
.LBB7_1059:
	s_mov_b32 s8, 0
.LBB7_1060:
	s_delay_alu instid0(SALU_CYCLE_1)
	s_and_b32 vcc_lo, exec_lo, s8
	s_cbranch_vccz .LBB7_1063
; %bb.1061:
	s_cmp_lg_u32 s4, 11
	s_mov_b32 s9, -1
	s_cselect_b32 s4, -1, 0
	s_and_not1_b32 s0, s0, exec_lo
	s_and_b32 s4, s4, exec_lo
	s_delay_alu instid0(SALU_CYCLE_1)
	s_or_b32 s0, s0, s4
	s_branch .LBB7_1063
.LBB7_1062:
	s_mov_b32 s9, 0
.LBB7_1063:
	s_and_not1_b32 s4, s41, exec_lo
	s_and_b32 s0, s0, exec_lo
	s_and_b32 s8, s5, exec_lo
	;; [unrolled: 1-line block ×3, first 2 shown]
	s_or_b32 s41, s4, s0
	s_wait_xcnt 0x0
	s_or_b32 exec_lo, exec_lo, s7
	s_and_saveexec_b32 s0, s41
	s_cbranch_execz .LBB7_992
.LBB7_1064:
	s_or_b32 s1, s1, exec_lo
	s_and_not1_b32 s9, s9, exec_lo
	s_trap 2
	s_or_b32 exec_lo, exec_lo, s0
	s_and_saveexec_b32 s0, s9
	s_delay_alu instid0(SALU_CYCLE_1)
	s_xor_b32 s0, exec_lo, s0
	s_cbranch_execnz .LBB7_993
.LBB7_1065:
	s_or_b32 exec_lo, exec_lo, s0
	s_and_saveexec_b32 s0, s8
	s_delay_alu instid0(SALU_CYCLE_1)
	s_xor_b32 s0, exec_lo, s0
	s_cbranch_execz .LBB7_1103
.LBB7_1066:
	s_sext_i32_i16 s5, s6
	s_mov_b32 s4, -1
	s_cmp_lt_i32 s5, 5
	s_cbranch_scc1 .LBB7_1087
; %bb.1067:
	s_cmp_lt_i32 s5, 8
	s_cbranch_scc1 .LBB7_1077
; %bb.1068:
	s_cmp_lt_i32 s5, 9
	s_cbranch_scc1 .LBB7_1074
; %bb.1069:
	s_cmp_gt_i32 s5, 9
	s_cbranch_scc0 .LBB7_1071
; %bb.1070:
	v_mov_b32_e32 v2, 0
	s_mov_b32 s4, 0
	s_delay_alu instid0(VALU_DEP_1)
	v_mov_b32_e32 v3, v2
	global_store_b128 v[4:5], v[0:3], off
.LBB7_1071:
	s_and_not1_b32 vcc_lo, exec_lo, s4
	s_cbranch_vccnz .LBB7_1073
; %bb.1072:
	s_wait_xcnt 0x0
	v_cvt_f32_f64_e32 v2, v[0:1]
	v_mov_b32_e32 v3, 0
	global_store_b64 v[4:5], v[2:3], off
.LBB7_1073:
	s_mov_b32 s4, 0
.LBB7_1074:
	s_delay_alu instid0(SALU_CYCLE_1)
	s_and_not1_b32 vcc_lo, exec_lo, s4
	s_cbranch_vccnz .LBB7_1076
; %bb.1075:
	s_wait_xcnt 0x0
	v_and_or_b32 v2, 0x1ff, v1, v0
	v_lshrrev_b32_e32 v3, 8, v1
	s_wait_loadcnt 0x0
	v_bfe_u32 v6, v1, 20, 11
	s_delay_alu instid0(VALU_DEP_3) | instskip(NEXT) | instid1(VALU_DEP_2)
	v_cmp_ne_u32_e32 vcc_lo, 0, v2
	v_sub_nc_u32_e32 v7, 0x3f1, v6
	v_cndmask_b32_e64 v2, 0, 1, vcc_lo
	s_delay_alu instid0(VALU_DEP_1) | instskip(NEXT) | instid1(VALU_DEP_3)
	v_and_or_b32 v2, 0xffe, v3, v2
	v_med3_i32 v3, v7, 0, 13
	s_delay_alu instid0(VALU_DEP_2) | instskip(NEXT) | instid1(VALU_DEP_1)
	v_or_b32_e32 v7, 0x1000, v2
	v_lshrrev_b32_e32 v8, v3, v7
	s_delay_alu instid0(VALU_DEP_1) | instskip(NEXT) | instid1(VALU_DEP_1)
	v_lshlrev_b32_e32 v3, v3, v8
	v_cmp_ne_u32_e32 vcc_lo, v3, v7
	v_cndmask_b32_e64 v3, 0, 1, vcc_lo
	s_delay_alu instid0(VALU_DEP_1) | instskip(SKIP_1) | instid1(VALU_DEP_1)
	v_or_b32_e32 v3, v8, v3
	v_add_nc_u32_e32 v6, 0xfffffc10, v6
	v_lshl_or_b32 v7, v6, 12, v2
	v_cmp_gt_i32_e32 vcc_lo, 1, v6
	s_delay_alu instid0(VALU_DEP_2) | instskip(NEXT) | instid1(VALU_DEP_1)
	v_cndmask_b32_e32 v3, v7, v3, vcc_lo
	v_dual_lshrrev_b32 v3, 2, v3 :: v_dual_bitop2_b32 v7, 7, v3 bitop3:0x40
	s_delay_alu instid0(VALU_DEP_1) | instskip(SKIP_4) | instid1(VALU_DEP_2)
	v_cmp_lt_i32_e32 vcc_lo, 5, v7
	v_cndmask_b32_e64 v8, 0, 1, vcc_lo
	v_cmp_eq_u32_e32 vcc_lo, 3, v7
	v_cndmask_b32_e64 v7, 0, 1, vcc_lo
	v_cmp_ne_u32_e32 vcc_lo, 0, v2
	v_or_b32_e32 v7, v7, v8
	s_delay_alu instid0(VALU_DEP_1) | instskip(NEXT) | instid1(VALU_DEP_1)
	v_dual_mov_b32 v8, 0x7e00 :: v_dual_add_nc_u32 v3, v3, v7
	v_cndmask_b32_e32 v2, 0x7c00, v8, vcc_lo
	v_cmp_gt_i32_e32 vcc_lo, 31, v6
	v_lshrrev_b32_e32 v7, 16, v1
	s_delay_alu instid0(VALU_DEP_4) | instskip(SKIP_1) | instid1(VALU_DEP_2)
	v_cndmask_b32_e32 v3, 0x7c00, v3, vcc_lo
	v_cmp_eq_u32_e32 vcc_lo, 0x40f, v6
	v_cndmask_b32_e32 v2, v3, v2, vcc_lo
	s_delay_alu instid0(VALU_DEP_4) | instskip(NEXT) | instid1(VALU_DEP_1)
	v_and_b32_e32 v3, 0x8000, v7
	v_bitop3_b32 v2, v3, 0xffff, v2 bitop3:0xc8
	global_store_b32 v[4:5], v2, off
.LBB7_1076:
	s_mov_b32 s4, 0
.LBB7_1077:
	s_delay_alu instid0(SALU_CYCLE_1)
	s_and_not1_b32 vcc_lo, exec_lo, s4
	s_cbranch_vccnz .LBB7_1086
; %bb.1078:
	s_sext_i32_i16 s5, s6
	s_mov_b32 s4, -1
	s_cmp_lt_i32 s5, 6
	s_cbranch_scc1 .LBB7_1084
; %bb.1079:
	s_cmp_gt_i32 s5, 6
	s_cbranch_scc0 .LBB7_1081
; %bb.1080:
	s_mov_b32 s4, 0
	global_store_b64 v[4:5], v[0:1], off
.LBB7_1081:
	s_and_not1_b32 vcc_lo, exec_lo, s4
	s_cbranch_vccnz .LBB7_1083
; %bb.1082:
	s_wait_xcnt 0x0
	v_cvt_f32_f64_e32 v2, v[0:1]
	global_store_b32 v[4:5], v2, off
.LBB7_1083:
	s_mov_b32 s4, 0
.LBB7_1084:
	s_delay_alu instid0(SALU_CYCLE_1)
	s_and_not1_b32 vcc_lo, exec_lo, s4
	s_cbranch_vccnz .LBB7_1086
; %bb.1085:
	s_wait_xcnt 0x0
	v_and_or_b32 v2, 0x1ff, v1, v0
	v_lshrrev_b32_e32 v3, 8, v1
	s_wait_loadcnt 0x0
	v_bfe_u32 v6, v1, 20, 11
	s_delay_alu instid0(VALU_DEP_3) | instskip(NEXT) | instid1(VALU_DEP_2)
	v_cmp_ne_u32_e32 vcc_lo, 0, v2
	v_sub_nc_u32_e32 v7, 0x3f1, v6
	v_cndmask_b32_e64 v2, 0, 1, vcc_lo
	s_delay_alu instid0(VALU_DEP_1) | instskip(NEXT) | instid1(VALU_DEP_3)
	v_and_or_b32 v2, 0xffe, v3, v2
	v_med3_i32 v3, v7, 0, 13
	s_delay_alu instid0(VALU_DEP_2) | instskip(NEXT) | instid1(VALU_DEP_1)
	v_or_b32_e32 v7, 0x1000, v2
	v_lshrrev_b32_e32 v8, v3, v7
	s_delay_alu instid0(VALU_DEP_1) | instskip(NEXT) | instid1(VALU_DEP_1)
	v_lshlrev_b32_e32 v3, v3, v8
	v_cmp_ne_u32_e32 vcc_lo, v3, v7
	v_cndmask_b32_e64 v3, 0, 1, vcc_lo
	s_delay_alu instid0(VALU_DEP_1) | instskip(SKIP_1) | instid1(VALU_DEP_1)
	v_or_b32_e32 v3, v8, v3
	v_add_nc_u32_e32 v6, 0xfffffc10, v6
	v_lshl_or_b32 v7, v6, 12, v2
	v_cmp_gt_i32_e32 vcc_lo, 1, v6
	s_delay_alu instid0(VALU_DEP_2) | instskip(NEXT) | instid1(VALU_DEP_1)
	v_cndmask_b32_e32 v3, v7, v3, vcc_lo
	v_dual_lshrrev_b32 v3, 2, v3 :: v_dual_bitop2_b32 v7, 7, v3 bitop3:0x40
	s_delay_alu instid0(VALU_DEP_1) | instskip(SKIP_4) | instid1(VALU_DEP_2)
	v_cmp_lt_i32_e32 vcc_lo, 5, v7
	v_cndmask_b32_e64 v8, 0, 1, vcc_lo
	v_cmp_eq_u32_e32 vcc_lo, 3, v7
	v_cndmask_b32_e64 v7, 0, 1, vcc_lo
	v_cmp_ne_u32_e32 vcc_lo, 0, v2
	v_or_b32_e32 v7, v7, v8
	s_delay_alu instid0(VALU_DEP_1) | instskip(NEXT) | instid1(VALU_DEP_1)
	v_dual_mov_b32 v8, 0x7e00 :: v_dual_add_nc_u32 v3, v3, v7
	v_cndmask_b32_e32 v2, 0x7c00, v8, vcc_lo
	v_cmp_gt_i32_e32 vcc_lo, 31, v6
	s_delay_alu instid0(VALU_DEP_3) | instskip(SKIP_1) | instid1(VALU_DEP_2)
	v_cndmask_b32_e32 v3, 0x7c00, v3, vcc_lo
	v_cmp_eq_u32_e32 vcc_lo, 0x40f, v6
	v_dual_cndmask_b32 v2, v3, v2 :: v_dual_lshrrev_b32 v3, 16, v1
	s_delay_alu instid0(VALU_DEP_1)
	v_and_or_b32 v2, 0x8000, v3, v2
	global_store_b16 v[4:5], v2, off
.LBB7_1086:
	s_mov_b32 s4, 0
.LBB7_1087:
	s_delay_alu instid0(SALU_CYCLE_1)
	s_and_not1_b32 vcc_lo, exec_lo, s4
	s_cbranch_vccnz .LBB7_1103
; %bb.1088:
	s_sext_i32_i16 s5, s6
	s_mov_b32 s4, -1
	s_cmp_lt_i32 s5, 2
	s_cbranch_scc1 .LBB7_1098
; %bb.1089:
	s_cmp_lt_i32 s5, 3
	s_cbranch_scc1 .LBB7_1095
; %bb.1090:
	s_cmp_gt_i32 s5, 3
	s_cbranch_scc0 .LBB7_1092
; %bb.1091:
	s_wait_xcnt 0x0
	v_trunc_f64_e32 v[2:3], v[0:1]
	s_mov_b32 s4, 0
	s_wait_loadcnt 0x0
	s_delay_alu instid0(VALU_DEP_1) | instskip(NEXT) | instid1(VALU_DEP_1)
	v_ldexp_f64 v[6:7], v[2:3], 0xffffffe0
	v_floor_f64_e32 v[6:7], v[6:7]
	s_delay_alu instid0(VALU_DEP_1) | instskip(SKIP_1) | instid1(VALU_DEP_2)
	v_fmamk_f64 v[2:3], v[6:7], 0xc1f00000, v[2:3]
	v_cvt_i32_f64_e32 v7, v[6:7]
	v_cvt_u32_f64_e32 v6, v[2:3]
	global_store_b64 v[4:5], v[6:7], off
.LBB7_1092:
	s_and_not1_b32 vcc_lo, exec_lo, s4
	s_cbranch_vccnz .LBB7_1094
; %bb.1093:
	s_wait_xcnt 0x0
	v_cvt_i32_f64_e32 v2, v[0:1]
	global_store_b32 v[4:5], v2, off
.LBB7_1094:
	s_mov_b32 s4, 0
.LBB7_1095:
	s_delay_alu instid0(SALU_CYCLE_1)
	s_and_not1_b32 vcc_lo, exec_lo, s4
	s_cbranch_vccnz .LBB7_1097
; %bb.1096:
	s_wait_xcnt 0x0
	v_cvt_i32_f64_e32 v2, v[0:1]
	global_store_b16 v[4:5], v2, off
.LBB7_1097:
	s_mov_b32 s4, 0
.LBB7_1098:
	s_delay_alu instid0(SALU_CYCLE_1)
	s_and_not1_b32 vcc_lo, exec_lo, s4
	s_cbranch_vccnz .LBB7_1103
; %bb.1099:
	s_sext_i32_i16 s4, s6
	s_delay_alu instid0(SALU_CYCLE_1)
	s_cmp_gt_i32 s4, 0
	s_mov_b32 s4, -1
	s_cbranch_scc0 .LBB7_1101
; %bb.1100:
	s_wait_xcnt 0x0
	v_cvt_i32_f64_e32 v2, v[0:1]
	s_mov_b32 s4, 0
	global_store_b8 v[4:5], v2, off
.LBB7_1101:
	s_and_not1_b32 vcc_lo, exec_lo, s4
	s_cbranch_vccnz .LBB7_1103
; %bb.1102:
	s_wait_xcnt 0x0
	v_trunc_f64_e32 v[0:1], v[0:1]
	s_delay_alu instid0(VALU_DEP_1) | instskip(NEXT) | instid1(VALU_DEP_1)
	v_ldexp_f64 v[2:3], v[0:1], 0xffffffe0
	v_floor_f64_e32 v[2:3], v[2:3]
	s_delay_alu instid0(VALU_DEP_1) | instskip(NEXT) | instid1(VALU_DEP_1)
	v_fmamk_f64 v[0:1], v[2:3], 0xc1f00000, v[0:1]
	v_cvt_u32_f64_e32 v0, v[0:1]
	global_store_b8 v[4:5], v0, off
.LBB7_1103:
	s_wait_xcnt 0x0
	s_or_b32 exec_lo, exec_lo, s0
	s_delay_alu instid0(SALU_CYCLE_1)
	s_and_b32 s8, s1, exec_lo
                                        ; implicit-def: $vgpr3
                                        ; implicit-def: $vgpr4
.LBB7_1104:
	s_or_saveexec_b32 s9, s36
	s_mov_b32 s0, 0
                                        ; implicit-def: $vgpr6_vgpr7
                                        ; implicit-def: $sgpr1
                                        ; implicit-def: $vgpr0_vgpr1
	s_xor_b32 exec_lo, exec_lo, s9
	s_cbranch_execz .LBB7_1769
; %bb.1105:
	v_cndmask_b32_e64 v0, 0, 1, s35
	s_and_not1_b32 vcc_lo, exec_lo, s35
	s_cbranch_vccnz .LBB7_1111
; %bb.1106:
	s_cmp_lg_u32 s19, 0
	s_mov_b32 s10, 0
	s_cbranch_scc0 .LBB7_1112
; %bb.1107:
	s_min_u32 s1, s33, 15
	s_delay_alu instid0(SALU_CYCLE_1)
	s_add_co_i32 s1, s1, 1
	s_cmp_eq_u32 s33, 2
	s_cbranch_scc1 .LBB7_1113
; %bb.1108:
	s_wait_loadcnt 0x0
	v_dual_mov_b32 v8, 0 :: v_dual_mov_b32 v6, 0
	v_mov_b32_e32 v1, v4
	s_and_b32 s0, s1, 28
	s_add_nc_u64 s[4:5], s[2:3], 0xc4
	s_mov_b32 s11, 0
	s_mov_b64 s[6:7], s[2:3]
.LBB7_1109:                             ; =>This Inner Loop Header: Depth=1
	s_clause 0x1
	s_load_b256 s[20:27], s[6:7], 0x4
	s_load_b128 s[12:15], s[6:7], 0x24
	s_load_b256 s[36:43], s[4:5], 0x0
	s_add_co_i32 s11, s11, 4
	s_wait_xcnt 0x0
	s_add_nc_u64 s[6:7], s[6:7], 48
	s_cmp_lg_u32 s0, s11
	s_add_nc_u64 s[4:5], s[4:5], 32
	s_wait_kmcnt 0x0
	v_mul_hi_u32 v2, s21, v1
	s_delay_alu instid0(VALU_DEP_1) | instskip(NEXT) | instid1(VALU_DEP_1)
	v_add_nc_u32_e32 v2, v1, v2
	v_lshrrev_b32_e32 v2, s22, v2
	s_delay_alu instid0(VALU_DEP_1) | instskip(NEXT) | instid1(VALU_DEP_1)
	v_mul_hi_u32 v5, s24, v2
	v_add_nc_u32_e32 v5, v2, v5
	s_delay_alu instid0(VALU_DEP_1) | instskip(NEXT) | instid1(VALU_DEP_1)
	v_lshrrev_b32_e32 v5, s25, v5
	v_mul_hi_u32 v7, s27, v5
	s_delay_alu instid0(VALU_DEP_1) | instskip(SKIP_1) | instid1(VALU_DEP_2)
	v_add_nc_u32_e32 v7, v5, v7
	v_mul_lo_u32 v9, v2, s20
	v_lshrrev_b32_e32 v7, s12, v7
	s_delay_alu instid0(VALU_DEP_1) | instskip(NEXT) | instid1(VALU_DEP_3)
	v_mul_hi_u32 v10, s14, v7
	v_sub_nc_u32_e32 v1, v1, v9
	v_mul_lo_u32 v9, v5, s23
	s_delay_alu instid0(VALU_DEP_1) | instskip(NEXT) | instid1(VALU_DEP_3)
	v_sub_nc_u32_e32 v2, v2, v9
	v_mad_u32 v6, v1, s37, v6
	v_mad_u32 v1, v1, s36, v8
	v_mul_lo_u32 v8, v7, s26
	v_add_nc_u32_e32 v9, v7, v10
	s_delay_alu instid0(VALU_DEP_4) | instskip(NEXT) | instid1(VALU_DEP_4)
	v_mad_u32 v6, v2, s39, v6
	v_mad_u32 v2, v2, s38, v1
	s_delay_alu instid0(VALU_DEP_3) | instskip(NEXT) | instid1(VALU_DEP_1)
	v_dual_sub_nc_u32 v5, v5, v8 :: v_dual_lshrrev_b32 v1, s15, v9
	v_mul_lo_u32 v8, v1, s13
	s_delay_alu instid0(VALU_DEP_2) | instskip(NEXT) | instid1(VALU_DEP_4)
	v_mad_u32 v6, v5, s41, v6
	v_mad_u32 v2, v5, s40, v2
	s_delay_alu instid0(VALU_DEP_3) | instskip(NEXT) | instid1(VALU_DEP_1)
	v_sub_nc_u32_e32 v5, v7, v8
	v_mad_u32 v6, v5, s43, v6
	s_delay_alu instid0(VALU_DEP_3)
	v_mad_u32 v8, v5, s42, v2
	s_cbranch_scc1 .LBB7_1109
; %bb.1110:
	s_delay_alu instid0(VALU_DEP_2)
	v_mov_b32_e32 v9, v6
	s_and_b32 s6, s1, 3
	s_mov_b32 s1, 0
	s_cmp_eq_u32 s6, 0
	s_cbranch_scc0 .LBB7_1114
	s_branch .LBB7_1117
.LBB7_1111:
	s_mov_b32 s10, -1
                                        ; implicit-def: $vgpr6
                                        ; implicit-def: $vgpr8
	s_branch .LBB7_1117
.LBB7_1112:
	s_wait_loadcnt 0x0
	v_dual_mov_b32 v6, 0 :: v_dual_mov_b32 v8, 0
	s_branch .LBB7_1117
.LBB7_1113:
	v_mov_b64_e32 v[8:9], 0
	v_mov_b32_e32 v1, v4
                                        ; implicit-def: $vgpr6
	s_and_b32 s6, s1, 3
	s_mov_b32 s1, 0
	s_cmp_eq_u32 s6, 0
	s_cbranch_scc1 .LBB7_1117
.LBB7_1114:
	s_lshl_b32 s4, s0, 3
	s_mov_b32 s5, s1
	s_mul_u64 s[12:13], s[0:1], 12
	s_add_nc_u64 s[4:5], s[2:3], s[4:5]
	s_delay_alu instid0(SALU_CYCLE_1)
	s_add_nc_u64 s[0:1], s[4:5], 0xc4
	s_add_nc_u64 s[4:5], s[2:3], s[12:13]
.LBB7_1115:                             ; =>This Inner Loop Header: Depth=1
	s_load_b96 s[12:14], s[4:5], 0x4
	s_add_co_i32 s6, s6, -1
	s_wait_xcnt 0x0
	s_add_nc_u64 s[4:5], s[4:5], 12
	s_cmp_lg_u32 s6, 0
	s_wait_kmcnt 0x0
	v_mul_hi_u32 v2, s13, v1
	s_delay_alu instid0(VALU_DEP_1) | instskip(NEXT) | instid1(VALU_DEP_1)
	v_add_nc_u32_e32 v2, v1, v2
	v_lshrrev_b32_e32 v2, s14, v2
	s_load_b64 s[14:15], s[0:1], 0x0
	s_wait_xcnt 0x0
	s_add_nc_u64 s[0:1], s[0:1], 8
	s_delay_alu instid0(VALU_DEP_1) | instskip(NEXT) | instid1(VALU_DEP_1)
	v_mul_lo_u32 v5, v2, s12
	v_sub_nc_u32_e32 v1, v1, v5
	s_wait_kmcnt 0x0
	s_delay_alu instid0(VALU_DEP_1)
	v_mad_u32 v9, v1, s15, v9
	v_mad_u32 v8, v1, s14, v8
	v_mov_b32_e32 v1, v2
	s_cbranch_scc1 .LBB7_1115
; %bb.1116:
	s_wait_loadcnt 0x0
	s_delay_alu instid0(VALU_DEP_3)
	v_mov_b32_e32 v6, v9
.LBB7_1117:
	s_and_not1_b32 vcc_lo, exec_lo, s10
	s_cbranch_vccnz .LBB7_1120
; %bb.1118:
	s_clause 0x1
	s_load_b96 s[4:6], s[2:3], 0x4
	s_load_b64 s[0:1], s[2:3], 0xc4
	s_cmp_lt_u32 s19, 2
	s_wait_kmcnt 0x0
	v_mul_hi_u32 v1, s5, v4
	s_delay_alu instid0(VALU_DEP_1) | instskip(NEXT) | instid1(VALU_DEP_1)
	v_add_nc_u32_e32 v1, v4, v1
	v_lshrrev_b32_e32 v1, s6, v1
	s_delay_alu instid0(VALU_DEP_1) | instskip(NEXT) | instid1(VALU_DEP_1)
	v_mul_lo_u32 v2, v1, s4
	v_sub_nc_u32_e32 v2, v4, v2
	s_wait_loadcnt 0x0
	s_delay_alu instid0(VALU_DEP_1)
	v_mul_lo_u32 v6, v2, s1
	v_mul_lo_u32 v8, v2, s0
	s_cbranch_scc1 .LBB7_1120
; %bb.1119:
	s_clause 0x1
	s_load_b96 s[4:6], s[2:3], 0x10
	s_load_b64 s[0:1], s[2:3], 0xcc
	s_wait_kmcnt 0x0
	v_mul_hi_u32 v2, s5, v1
	s_delay_alu instid0(VALU_DEP_1) | instskip(NEXT) | instid1(VALU_DEP_1)
	v_add_nc_u32_e32 v2, v1, v2
	v_lshrrev_b32_e32 v2, s6, v2
	s_delay_alu instid0(VALU_DEP_1) | instskip(NEXT) | instid1(VALU_DEP_1)
	v_mul_lo_u32 v2, v2, s4
	v_sub_nc_u32_e32 v1, v1, v2
	s_delay_alu instid0(VALU_DEP_1)
	v_mad_u32 v8, v1, s0, v8
	v_mad_u32 v6, v1, s1, v6
.LBB7_1120:
	v_cmp_ne_u32_e32 vcc_lo, 1, v0
	v_add_nc_u32_e32 v1, 0x80, v4
	s_cbranch_vccnz .LBB7_1126
; %bb.1121:
	s_cmp_lg_u32 s19, 0
	s_mov_b32 s10, 0
	s_cbranch_scc0 .LBB7_1127
; %bb.1122:
	s_min_u32 s1, s33, 15
	s_delay_alu instid0(SALU_CYCLE_1)
	s_add_co_i32 s1, s1, 1
	s_cmp_eq_u32 s33, 2
	s_cbranch_scc1 .LBB7_1128
; %bb.1123:
	v_dual_mov_b32 v14, 0 :: v_dual_mov_b32 v16, 0
	v_mov_b32_e32 v2, v1
	s_and_b32 s0, s1, 28
	s_add_nc_u64 s[4:5], s[2:3], 0xc4
	s_mov_b32 s11, 0
	s_mov_b64 s[6:7], s[2:3]
.LBB7_1124:                             ; =>This Inner Loop Header: Depth=1
	s_clause 0x1
	s_load_b256 s[20:27], s[6:7], 0x4
	s_load_b128 s[12:15], s[6:7], 0x24
	s_load_b256 s[36:43], s[4:5], 0x0
	s_add_co_i32 s11, s11, 4
	s_wait_xcnt 0x0
	s_add_nc_u64 s[6:7], s[6:7], 48
	s_cmp_lg_u32 s0, s11
	s_add_nc_u64 s[4:5], s[4:5], 32
	s_wait_kmcnt 0x0
	v_mul_hi_u32 v5, s21, v2
	s_delay_alu instid0(VALU_DEP_1) | instskip(NEXT) | instid1(VALU_DEP_1)
	v_add_nc_u32_e32 v5, v2, v5
	v_lshrrev_b32_e32 v5, s22, v5
	s_delay_alu instid0(VALU_DEP_1) | instskip(NEXT) | instid1(VALU_DEP_1)
	v_mul_lo_u32 v10, v5, s20
	v_sub_nc_u32_e32 v2, v2, v10
	s_wait_loadcnt 0x0
	v_mul_hi_u32 v7, s24, v5
	s_delay_alu instid0(VALU_DEP_2) | instskip(SKIP_1) | instid1(VALU_DEP_3)
	v_mad_u32 v12, v2, s37, v16
	v_mad_u32 v2, v2, s36, v14
	v_add_nc_u32_e32 v7, v5, v7
	s_delay_alu instid0(VALU_DEP_1) | instskip(NEXT) | instid1(VALU_DEP_1)
	v_lshrrev_b32_e32 v7, s25, v7
	v_mul_hi_u32 v9, s27, v7
	v_mul_lo_u32 v10, v7, s23
	s_delay_alu instid0(VALU_DEP_1) | instskip(NEXT) | instid1(VALU_DEP_1)
	v_dual_add_nc_u32 v9, v7, v9 :: v_dual_sub_nc_u32 v5, v5, v10
	v_lshrrev_b32_e32 v9, s12, v9
	s_delay_alu instid0(VALU_DEP_2) | instskip(SKIP_1) | instid1(VALU_DEP_3)
	v_mad_u32 v12, v5, s39, v12
	v_mad_u32 v5, v5, s38, v2
	v_mul_hi_u32 v11, s14, v9
	v_mul_lo_u32 v10, v9, s26
	s_delay_alu instid0(VALU_DEP_1) | instskip(NEXT) | instid1(VALU_DEP_1)
	v_dual_add_nc_u32 v11, v9, v11 :: v_dual_sub_nc_u32 v7, v7, v10
	v_lshrrev_b32_e32 v2, s15, v11
	s_delay_alu instid0(VALU_DEP_2) | instskip(SKIP_1) | instid1(VALU_DEP_3)
	v_mad_u32 v11, v7, s41, v12
	v_mad_u32 v5, v7, s40, v5
	v_mul_lo_u32 v10, v2, s13
	s_delay_alu instid0(VALU_DEP_1) | instskip(NEXT) | instid1(VALU_DEP_1)
	v_sub_nc_u32_e32 v7, v9, v10
	v_mad_u32 v16, v7, s43, v11
	s_delay_alu instid0(VALU_DEP_4)
	v_mad_u32 v14, v7, s42, v5
	s_cbranch_scc1 .LBB7_1124
; %bb.1125:
	s_delay_alu instid0(VALU_DEP_2)
	v_mov_b32_e32 v15, v16
	s_and_b32 s6, s1, 3
	s_mov_b32 s1, 0
	s_cmp_eq_u32 s6, 0
	s_cbranch_scc0 .LBB7_1129
	s_branch .LBB7_1132
.LBB7_1126:
	s_mov_b32 s10, -1
                                        ; implicit-def: $vgpr16
                                        ; implicit-def: $vgpr14
	s_branch .LBB7_1132
.LBB7_1127:
	v_dual_mov_b32 v16, 0 :: v_dual_mov_b32 v14, 0
	s_branch .LBB7_1132
.LBB7_1128:
	v_mov_b64_e32 v[14:15], 0
	v_mov_b32_e32 v2, v1
	s_mov_b32 s0, 0
                                        ; implicit-def: $vgpr16
	s_and_b32 s6, s1, 3
	s_mov_b32 s1, 0
	s_cmp_eq_u32 s6, 0
	s_cbranch_scc1 .LBB7_1132
.LBB7_1129:
	s_lshl_b32 s4, s0, 3
	s_mov_b32 s5, s1
	s_mul_u64 s[12:13], s[0:1], 12
	s_add_nc_u64 s[4:5], s[2:3], s[4:5]
	s_delay_alu instid0(SALU_CYCLE_1)
	s_add_nc_u64 s[0:1], s[4:5], 0xc4
	s_add_nc_u64 s[4:5], s[2:3], s[12:13]
.LBB7_1130:                             ; =>This Inner Loop Header: Depth=1
	s_load_b96 s[12:14], s[4:5], 0x4
	s_add_co_i32 s6, s6, -1
	s_wait_xcnt 0x0
	s_add_nc_u64 s[4:5], s[4:5], 12
	s_cmp_lg_u32 s6, 0
	s_wait_kmcnt 0x0
	v_mul_hi_u32 v5, s13, v2
	s_delay_alu instid0(VALU_DEP_1) | instskip(NEXT) | instid1(VALU_DEP_1)
	v_add_nc_u32_e32 v5, v2, v5
	v_lshrrev_b32_e32 v5, s14, v5
	s_load_b64 s[14:15], s[0:1], 0x0
	s_wait_xcnt 0x0
	s_add_nc_u64 s[0:1], s[0:1], 8
	s_wait_loadcnt 0x0
	v_mul_lo_u32 v7, v5, s12
	s_delay_alu instid0(VALU_DEP_1) | instskip(SKIP_1) | instid1(VALU_DEP_1)
	v_sub_nc_u32_e32 v2, v2, v7
	s_wait_kmcnt 0x0
	v_mad_u32 v15, v2, s15, v15
	v_mad_u32 v14, v2, s14, v14
	v_mov_b32_e32 v2, v5
	s_cbranch_scc1 .LBB7_1130
; %bb.1131:
	s_delay_alu instid0(VALU_DEP_3)
	v_mov_b32_e32 v16, v15
.LBB7_1132:
	s_and_not1_b32 vcc_lo, exec_lo, s10
	s_cbranch_vccnz .LBB7_1135
; %bb.1133:
	s_clause 0x1
	s_load_b96 s[4:6], s[2:3], 0x4
	s_load_b64 s[0:1], s[2:3], 0xc4
	s_cmp_lt_u32 s19, 2
	s_wait_kmcnt 0x0
	v_mul_hi_u32 v2, s5, v1
	s_delay_alu instid0(VALU_DEP_1) | instskip(NEXT) | instid1(VALU_DEP_1)
	v_add_nc_u32_e32 v2, v1, v2
	v_lshrrev_b32_e32 v2, s6, v2
	s_delay_alu instid0(VALU_DEP_1) | instskip(NEXT) | instid1(VALU_DEP_1)
	v_mul_lo_u32 v5, v2, s4
	v_sub_nc_u32_e32 v1, v1, v5
	s_delay_alu instid0(VALU_DEP_1)
	v_mul_lo_u32 v16, v1, s1
	v_mul_lo_u32 v14, v1, s0
	s_cbranch_scc1 .LBB7_1135
; %bb.1134:
	s_clause 0x1
	s_load_b96 s[4:6], s[2:3], 0x10
	s_load_b64 s[0:1], s[2:3], 0xcc
	s_wait_kmcnt 0x0
	v_mul_hi_u32 v1, s5, v2
	s_delay_alu instid0(VALU_DEP_1) | instskip(NEXT) | instid1(VALU_DEP_1)
	v_add_nc_u32_e32 v1, v2, v1
	v_lshrrev_b32_e32 v1, s6, v1
	s_delay_alu instid0(VALU_DEP_1) | instskip(NEXT) | instid1(VALU_DEP_1)
	v_mul_lo_u32 v1, v1, s4
	v_sub_nc_u32_e32 v1, v2, v1
	s_delay_alu instid0(VALU_DEP_1)
	v_mad_u32 v14, v1, s0, v14
	v_mad_u32 v16, v1, s1, v16
.LBB7_1135:
	v_cmp_ne_u32_e32 vcc_lo, 1, v0
	v_add_nc_u32_e32 v1, 0x100, v4
	s_cbranch_vccnz .LBB7_1141
; %bb.1136:
	s_cmp_lg_u32 s19, 0
	s_mov_b32 s10, 0
	s_cbranch_scc0 .LBB7_1142
; %bb.1137:
	s_min_u32 s1, s33, 15
	s_delay_alu instid0(SALU_CYCLE_1)
	s_add_co_i32 s1, s1, 1
	s_cmp_eq_u32 s33, 2
	s_cbranch_scc1 .LBB7_1143
; %bb.1138:
	v_dual_mov_b32 v12, 0 :: v_dual_mov_b32 v2, 0
	v_mov_b32_e32 v4, v1
	s_and_b32 s0, s1, 28
	s_add_nc_u64 s[4:5], s[2:3], 0xc4
	s_mov_b32 s11, 0
	s_mov_b64 s[6:7], s[2:3]
.LBB7_1139:                             ; =>This Inner Loop Header: Depth=1
	s_clause 0x1
	s_load_b256 s[20:27], s[6:7], 0x4
	s_load_b128 s[12:15], s[6:7], 0x24
	s_load_b256 s[36:43], s[4:5], 0x0
	s_add_co_i32 s11, s11, 4
	s_wait_xcnt 0x0
	s_add_nc_u64 s[6:7], s[6:7], 48
	s_cmp_lg_u32 s0, s11
	s_add_nc_u64 s[4:5], s[4:5], 32
	s_wait_kmcnt 0x0
	v_mul_hi_u32 v5, s21, v4
	s_delay_alu instid0(VALU_DEP_1) | instskip(NEXT) | instid1(VALU_DEP_1)
	v_add_nc_u32_e32 v5, v4, v5
	v_lshrrev_b32_e32 v5, s22, v5
	s_delay_alu instid0(VALU_DEP_1) | instskip(NEXT) | instid1(VALU_DEP_1)
	v_mul_lo_u32 v10, v5, s20
	v_sub_nc_u32_e32 v4, v4, v10
	s_wait_loadcnt 0x0
	v_mul_hi_u32 v7, s24, v5
	s_delay_alu instid0(VALU_DEP_2) | instskip(SKIP_1) | instid1(VALU_DEP_3)
	v_mad_u32 v2, v4, s37, v2
	v_mad_u32 v4, v4, s36, v12
	v_add_nc_u32_e32 v7, v5, v7
	s_delay_alu instid0(VALU_DEP_1) | instskip(NEXT) | instid1(VALU_DEP_1)
	v_lshrrev_b32_e32 v7, s25, v7
	v_mul_hi_u32 v9, s27, v7
	v_mul_lo_u32 v10, v7, s23
	s_delay_alu instid0(VALU_DEP_1) | instskip(NEXT) | instid1(VALU_DEP_1)
	v_dual_add_nc_u32 v9, v7, v9 :: v_dual_sub_nc_u32 v5, v5, v10
	v_lshrrev_b32_e32 v9, s12, v9
	s_delay_alu instid0(VALU_DEP_2) | instskip(SKIP_1) | instid1(VALU_DEP_3)
	v_mad_u32 v2, v5, s39, v2
	v_mad_u32 v5, v5, s38, v4
	v_mul_hi_u32 v11, s14, v9
	v_mul_lo_u32 v10, v9, s26
	s_delay_alu instid0(VALU_DEP_1) | instskip(NEXT) | instid1(VALU_DEP_1)
	v_dual_add_nc_u32 v11, v9, v11 :: v_dual_sub_nc_u32 v7, v7, v10
	v_lshrrev_b32_e32 v4, s15, v11
	s_delay_alu instid0(VALU_DEP_2) | instskip(SKIP_1) | instid1(VALU_DEP_3)
	v_mad_u32 v2, v7, s41, v2
	v_mad_u32 v5, v7, s40, v5
	v_mul_lo_u32 v10, v4, s13
	s_delay_alu instid0(VALU_DEP_1) | instskip(NEXT) | instid1(VALU_DEP_1)
	v_sub_nc_u32_e32 v7, v9, v10
	v_mad_u32 v2, v7, s43, v2
	s_delay_alu instid0(VALU_DEP_4)
	v_mad_u32 v12, v7, s42, v5
	s_cbranch_scc1 .LBB7_1139
; %bb.1140:
	s_delay_alu instid0(VALU_DEP_2)
	v_mov_b32_e32 v13, v2
	s_and_b32 s6, s1, 3
	s_mov_b32 s1, 0
	s_cmp_eq_u32 s6, 0
	s_cbranch_scc0 .LBB7_1144
	s_branch .LBB7_1147
.LBB7_1141:
	s_mov_b32 s10, -1
                                        ; implicit-def: $vgpr2
                                        ; implicit-def: $vgpr12
	s_branch .LBB7_1147
.LBB7_1142:
	v_dual_mov_b32 v2, 0 :: v_dual_mov_b32 v12, 0
	s_branch .LBB7_1147
.LBB7_1143:
	v_mov_b64_e32 v[12:13], 0
	v_mov_b32_e32 v4, v1
	s_mov_b32 s0, 0
                                        ; implicit-def: $vgpr2
	s_and_b32 s6, s1, 3
	s_mov_b32 s1, 0
	s_cmp_eq_u32 s6, 0
	s_cbranch_scc1 .LBB7_1147
.LBB7_1144:
	s_lshl_b32 s4, s0, 3
	s_mov_b32 s5, s1
	s_mul_u64 s[12:13], s[0:1], 12
	s_add_nc_u64 s[4:5], s[2:3], s[4:5]
	s_delay_alu instid0(SALU_CYCLE_1)
	s_add_nc_u64 s[0:1], s[4:5], 0xc4
	s_add_nc_u64 s[4:5], s[2:3], s[12:13]
.LBB7_1145:                             ; =>This Inner Loop Header: Depth=1
	s_load_b96 s[12:14], s[4:5], 0x4
	s_add_co_i32 s6, s6, -1
	s_wait_xcnt 0x0
	s_add_nc_u64 s[4:5], s[4:5], 12
	s_cmp_lg_u32 s6, 0
	s_wait_kmcnt 0x0
	v_mul_hi_u32 v2, s13, v4
	s_delay_alu instid0(VALU_DEP_1) | instskip(NEXT) | instid1(VALU_DEP_1)
	v_add_nc_u32_e32 v2, v4, v2
	v_lshrrev_b32_e32 v2, s14, v2
	s_load_b64 s[14:15], s[0:1], 0x0
	s_wait_xcnt 0x0
	s_add_nc_u64 s[0:1], s[0:1], 8
	s_delay_alu instid0(VALU_DEP_1) | instskip(NEXT) | instid1(VALU_DEP_1)
	v_mul_lo_u32 v5, v2, s12
	v_sub_nc_u32_e32 v4, v4, v5
	s_wait_kmcnt 0x0
	s_delay_alu instid0(VALU_DEP_1)
	v_mad_u32 v13, v4, s15, v13
	v_mad_u32 v12, v4, s14, v12
	v_mov_b32_e32 v4, v2
	s_cbranch_scc1 .LBB7_1145
; %bb.1146:
	s_delay_alu instid0(VALU_DEP_3)
	v_mov_b32_e32 v2, v13
.LBB7_1147:
	s_and_not1_b32 vcc_lo, exec_lo, s10
	s_cbranch_vccnz .LBB7_1150
; %bb.1148:
	s_clause 0x1
	s_load_b96 s[4:6], s[2:3], 0x4
	s_load_b64 s[0:1], s[2:3], 0xc4
	s_cmp_lt_u32 s19, 2
	s_wait_kmcnt 0x0
	v_mul_hi_u32 v2, s5, v1
	s_delay_alu instid0(VALU_DEP_1) | instskip(NEXT) | instid1(VALU_DEP_1)
	v_add_nc_u32_e32 v2, v1, v2
	v_lshrrev_b32_e32 v4, s6, v2
	s_delay_alu instid0(VALU_DEP_1) | instskip(NEXT) | instid1(VALU_DEP_1)
	v_mul_lo_u32 v2, v4, s4
	v_sub_nc_u32_e32 v1, v1, v2
	s_delay_alu instid0(VALU_DEP_1)
	v_mul_lo_u32 v2, v1, s1
	v_mul_lo_u32 v12, v1, s0
	s_cbranch_scc1 .LBB7_1150
; %bb.1149:
	s_clause 0x1
	s_load_b96 s[4:6], s[2:3], 0x10
	s_load_b64 s[0:1], s[2:3], 0xcc
	s_wait_kmcnt 0x0
	v_mul_hi_u32 v1, s5, v4
	s_delay_alu instid0(VALU_DEP_1) | instskip(NEXT) | instid1(VALU_DEP_1)
	v_add_nc_u32_e32 v1, v4, v1
	v_lshrrev_b32_e32 v1, s6, v1
	s_delay_alu instid0(VALU_DEP_1) | instskip(NEXT) | instid1(VALU_DEP_1)
	v_mul_lo_u32 v1, v1, s4
	v_sub_nc_u32_e32 v1, v4, v1
	s_delay_alu instid0(VALU_DEP_1)
	v_mad_u32 v12, v1, s0, v12
	v_mad_u32 v2, v1, s1, v2
.LBB7_1150:
	v_cmp_ne_u32_e32 vcc_lo, 1, v0
	s_cbranch_vccnz .LBB7_1156
; %bb.1151:
	s_cmp_lg_u32 s19, 0
	s_mov_b32 s10, 0
	s_cbranch_scc0 .LBB7_1157
; %bb.1152:
	s_min_u32 s1, s33, 15
	s_delay_alu instid0(SALU_CYCLE_1)
	s_add_co_i32 s1, s1, 1
	s_cmp_eq_u32 s33, 2
	s_cbranch_scc1 .LBB7_1158
; %bb.1153:
	v_dual_mov_b32 v10, 0 :: v_dual_mov_b32 v0, 0
	v_mov_b32_e32 v1, v3
	s_and_b32 s0, s1, 28
	s_add_nc_u64 s[4:5], s[2:3], 0xc4
	s_mov_b32 s11, 0
	s_mov_b64 s[6:7], s[2:3]
.LBB7_1154:                             ; =>This Inner Loop Header: Depth=1
	s_clause 0x1
	s_load_b256 s[20:27], s[6:7], 0x4
	s_load_b128 s[12:15], s[6:7], 0x24
	s_load_b256 s[36:43], s[4:5], 0x0
	s_add_co_i32 s11, s11, 4
	s_wait_xcnt 0x0
	s_add_nc_u64 s[6:7], s[6:7], 48
	s_cmp_lg_u32 s0, s11
	s_add_nc_u64 s[4:5], s[4:5], 32
	s_wait_kmcnt 0x0
	v_mul_hi_u32 v4, s21, v1
	s_delay_alu instid0(VALU_DEP_1) | instskip(NEXT) | instid1(VALU_DEP_1)
	v_add_nc_u32_e32 v4, v1, v4
	v_lshrrev_b32_e32 v4, s22, v4
	s_delay_alu instid0(VALU_DEP_1) | instskip(NEXT) | instid1(VALU_DEP_1)
	v_mul_hi_u32 v5, s24, v4
	v_add_nc_u32_e32 v5, v4, v5
	s_delay_alu instid0(VALU_DEP_1) | instskip(SKIP_1) | instid1(VALU_DEP_1)
	v_lshrrev_b32_e32 v5, s25, v5
	s_wait_loadcnt 0x0
	v_mul_hi_u32 v7, s27, v5
	s_delay_alu instid0(VALU_DEP_1) | instskip(SKIP_1) | instid1(VALU_DEP_2)
	v_add_nc_u32_e32 v7, v5, v7
	v_mul_lo_u32 v9, v4, s20
	v_lshrrev_b32_e32 v7, s12, v7
	s_delay_alu instid0(VALU_DEP_1) | instskip(NEXT) | instid1(VALU_DEP_3)
	v_mul_hi_u32 v11, s14, v7
	v_sub_nc_u32_e32 v1, v1, v9
	v_mul_lo_u32 v9, v5, s23
	s_delay_alu instid0(VALU_DEP_1) | instskip(NEXT) | instid1(VALU_DEP_3)
	v_sub_nc_u32_e32 v4, v4, v9
	v_mad_u32 v0, v1, s37, v0
	v_mad_u32 v1, v1, s36, v10
	v_mul_lo_u32 v9, v7, s26
	v_add_nc_u32_e32 v10, v7, v11
	s_delay_alu instid0(VALU_DEP_4) | instskip(NEXT) | instid1(VALU_DEP_4)
	v_mad_u32 v0, v4, s39, v0
	v_mad_u32 v4, v4, s38, v1
	s_delay_alu instid0(VALU_DEP_3) | instskip(NEXT) | instid1(VALU_DEP_1)
	v_dual_sub_nc_u32 v5, v5, v9 :: v_dual_lshrrev_b32 v1, s15, v10
	v_mul_lo_u32 v9, v1, s13
	s_delay_alu instid0(VALU_DEP_2) | instskip(NEXT) | instid1(VALU_DEP_4)
	v_mad_u32 v0, v5, s41, v0
	v_mad_u32 v4, v5, s40, v4
	s_delay_alu instid0(VALU_DEP_3) | instskip(NEXT) | instid1(VALU_DEP_1)
	v_sub_nc_u32_e32 v5, v7, v9
	v_mad_u32 v0, v5, s43, v0
	s_delay_alu instid0(VALU_DEP_3)
	v_mad_u32 v10, v5, s42, v4
	s_cbranch_scc1 .LBB7_1154
; %bb.1155:
	s_delay_alu instid0(VALU_DEP_2)
	v_mov_b32_e32 v11, v0
	s_and_b32 s6, s1, 3
	s_mov_b32 s1, 0
	s_cmp_eq_u32 s6, 0
	s_cbranch_scc0 .LBB7_1159
	s_branch .LBB7_1162
.LBB7_1156:
	s_mov_b32 s10, -1
                                        ; implicit-def: $vgpr0
                                        ; implicit-def: $vgpr10
	s_branch .LBB7_1162
.LBB7_1157:
	v_dual_mov_b32 v0, 0 :: v_dual_mov_b32 v10, 0
	s_branch .LBB7_1162
.LBB7_1158:
	v_mov_b64_e32 v[10:11], 0
	v_mov_b32_e32 v1, v3
	s_mov_b32 s0, 0
                                        ; implicit-def: $vgpr0
	s_and_b32 s6, s1, 3
	s_mov_b32 s1, 0
	s_cmp_eq_u32 s6, 0
	s_cbranch_scc1 .LBB7_1162
.LBB7_1159:
	s_lshl_b32 s4, s0, 3
	s_mov_b32 s5, s1
	s_mul_u64 s[12:13], s[0:1], 12
	s_add_nc_u64 s[4:5], s[2:3], s[4:5]
	s_delay_alu instid0(SALU_CYCLE_1)
	s_add_nc_u64 s[0:1], s[4:5], 0xc4
	s_add_nc_u64 s[4:5], s[2:3], s[12:13]
.LBB7_1160:                             ; =>This Inner Loop Header: Depth=1
	s_load_b96 s[12:14], s[4:5], 0x4
	s_add_co_i32 s6, s6, -1
	s_wait_xcnt 0x0
	s_add_nc_u64 s[4:5], s[4:5], 12
	s_cmp_lg_u32 s6, 0
	s_wait_kmcnt 0x0
	v_mul_hi_u32 v0, s13, v1
	s_delay_alu instid0(VALU_DEP_1) | instskip(NEXT) | instid1(VALU_DEP_1)
	v_add_nc_u32_e32 v0, v1, v0
	v_lshrrev_b32_e32 v0, s14, v0
	s_load_b64 s[14:15], s[0:1], 0x0
	s_wait_xcnt 0x0
	s_add_nc_u64 s[0:1], s[0:1], 8
	s_delay_alu instid0(VALU_DEP_1) | instskip(NEXT) | instid1(VALU_DEP_1)
	v_mul_lo_u32 v4, v0, s12
	v_sub_nc_u32_e32 v1, v1, v4
	s_wait_kmcnt 0x0
	s_delay_alu instid0(VALU_DEP_1)
	v_mad_u32 v11, v1, s15, v11
	v_mad_u32 v10, v1, s14, v10
	v_mov_b32_e32 v1, v0
	s_cbranch_scc1 .LBB7_1160
; %bb.1161:
	s_delay_alu instid0(VALU_DEP_3)
	v_mov_b32_e32 v0, v11
.LBB7_1162:
	s_and_not1_b32 vcc_lo, exec_lo, s10
	s_cbranch_vccnz .LBB7_1165
; %bb.1163:
	s_clause 0x1
	s_load_b96 s[4:6], s[2:3], 0x4
	s_load_b64 s[0:1], s[2:3], 0xc4
	s_cmp_lt_u32 s19, 2
	s_wait_kmcnt 0x0
	v_mul_hi_u32 v0, s5, v3
	s_delay_alu instid0(VALU_DEP_1) | instskip(NEXT) | instid1(VALU_DEP_1)
	v_add_nc_u32_e32 v0, v3, v0
	v_lshrrev_b32_e32 v1, s6, v0
	s_delay_alu instid0(VALU_DEP_1) | instskip(NEXT) | instid1(VALU_DEP_1)
	v_mul_lo_u32 v0, v1, s4
	v_sub_nc_u32_e32 v3, v3, v0
	s_delay_alu instid0(VALU_DEP_1)
	v_mul_lo_u32 v0, v3, s1
	v_mul_lo_u32 v10, v3, s0
	s_cbranch_scc1 .LBB7_1165
; %bb.1164:
	s_clause 0x1
	s_load_b96 s[4:6], s[2:3], 0x10
	s_load_b64 s[0:1], s[2:3], 0xcc
	s_wait_kmcnt 0x0
	v_mul_hi_u32 v3, s5, v1
	s_delay_alu instid0(VALU_DEP_1) | instskip(NEXT) | instid1(VALU_DEP_1)
	v_add_nc_u32_e32 v3, v1, v3
	v_lshrrev_b32_e32 v3, s6, v3
	s_delay_alu instid0(VALU_DEP_1) | instskip(NEXT) | instid1(VALU_DEP_1)
	v_mul_lo_u32 v3, v3, s4
	v_sub_nc_u32_e32 v1, v1, v3
	s_delay_alu instid0(VALU_DEP_1)
	v_mad_u32 v10, v1, s0, v10
	v_mad_u32 v0, v1, s1, v0
.LBB7_1165:
	s_wait_loadcnt 0x0
	v_mov_b32_e32 v7, 0
	s_load_b128 s[4:7], s[2:3], 0x148
	global_load_u8 v1, v7, s[2:3] offset:353
	s_wait_kmcnt 0x0
	v_add_nc_u64_e32 v[4:5], s[6:7], v[6:7]
	s_wait_loadcnt 0x0
	v_and_b32_e32 v3, 0xffff, v1
	v_readfirstlane_b32 s11, v1
	s_delay_alu instid0(VALU_DEP_2)
	v_cmp_gt_i32_e32 vcc_lo, 11, v3
	s_cbranch_vccnz .LBB7_1172
; %bb.1166:
	s_and_b32 s0, 0xffff, s11
	s_mov_b32 s12, 0
	s_cmp_gt_i32 s0, 25
	s_cbranch_scc0 .LBB7_1174
; %bb.1167:
	s_cmp_gt_i32 s0, 28
	s_cbranch_scc0 .LBB7_1175
; %bb.1168:
	;; [unrolled: 3-line block ×4, first 2 shown]
	s_cmp_eq_u32 s0, 46
	s_mov_b32 s10, 0
	s_cbranch_scc0 .LBB7_1180
; %bb.1171:
	global_load_b32 v1, v[4:5], off
	s_mov_b32 s1, 0
	s_mov_b32 s13, -1
	s_wait_loadcnt 0x0
	v_lshlrev_b32_e32 v1, 16, v1
	s_delay_alu instid0(VALU_DEP_1)
	v_cvt_f64_f32_e32 v[18:19], v1
	s_branch .LBB7_1182
.LBB7_1172:
	s_mov_b32 s13, 0
	s_mov_b32 s10, s8
                                        ; implicit-def: $vgpr18_vgpr19
	s_cbranch_execnz .LBB7_1245
.LBB7_1173:
	s_and_not1_b32 vcc_lo, exec_lo, s13
	s_cbranch_vccz .LBB7_1290
	s_branch .LBB7_1767
.LBB7_1174:
	s_mov_b32 s13, 0
	s_mov_b32 s1, 0
                                        ; implicit-def: $vgpr18_vgpr19
	s_cbranch_execnz .LBB7_1210
	s_branch .LBB7_1241
.LBB7_1175:
	s_mov_b32 s10, -1
	s_mov_b32 s13, 0
	s_mov_b32 s1, 0
                                        ; implicit-def: $vgpr18_vgpr19
	s_branch .LBB7_1191
.LBB7_1176:
	s_mov_b32 s13, 0
	s_mov_b32 s1, 0
                                        ; implicit-def: $vgpr18_vgpr19
	s_cbranch_execnz .LBB7_1187
	s_branch .LBB7_1190
.LBB7_1177:
	s_mov_b32 s10, -1
	s_mov_b32 s13, 0
	s_mov_b32 s1, 0
	s_branch .LBB7_1181
.LBB7_1178:
	s_and_not1_saveexec_b32 s9, s9
	s_cbranch_execz .LBB7_1017
.LBB7_1179:
	v_add_f32_e64 v3, 0x46000000, |v2|
	s_and_not1_b32 s8, s8, exec_lo
	s_delay_alu instid0(VALU_DEP_1) | instskip(NEXT) | instid1(VALU_DEP_1)
	v_and_b32_e32 v3, 0xff, v3
	v_cmp_ne_u32_e32 vcc_lo, 0, v3
	s_and_b32 s10, vcc_lo, exec_lo
	s_delay_alu instid0(SALU_CYCLE_1)
	s_or_b32 s8, s8, s10
	s_or_b32 exec_lo, exec_lo, s9
	v_mov_b32_e32 v6, 0
	s_and_saveexec_b32 s9, s8
	s_cbranch_execnz .LBB7_1018
	s_branch .LBB7_1019
.LBB7_1180:
	s_mov_b32 s1, -1
	s_mov_b32 s13, 0
.LBB7_1181:
                                        ; implicit-def: $vgpr18_vgpr19
.LBB7_1182:
	s_and_b32 vcc_lo, exec_lo, s10
	s_cbranch_vccz .LBB7_1185
; %bb.1183:
	s_cmp_eq_u32 s0, 44
	s_cbranch_scc0 .LBB7_1186
; %bb.1184:
	global_load_u8 v1, v[4:5], off
	s_mov_b32 s1, 0
	s_mov_b32 s13, -1
	s_wait_loadcnt 0x0
	v_cmp_ne_u32_e32 vcc_lo, 0xff, v1
	v_lshlrev_b32_e32 v3, 23, v1
	s_wait_xcnt 0x1
	s_delay_alu instid0(VALU_DEP_1) | instskip(NEXT) | instid1(VALU_DEP_1)
	v_cvt_f64_f32_e32 v[6:7], v3
	v_cndmask_b32_e32 v3, 0x20000000, v6, vcc_lo
	s_delay_alu instid0(VALU_DEP_2) | instskip(SKIP_1) | instid1(VALU_DEP_2)
	v_cndmask_b32_e32 v6, 0x7ff80000, v7, vcc_lo
	v_cmp_ne_u32_e32 vcc_lo, 0, v1
	v_cndmask_b32_e32 v19, 0x38000000, v6, vcc_lo
	s_delay_alu instid0(VALU_DEP_4)
	v_cndmask_b32_e32 v18, 0, v3, vcc_lo
.LBB7_1185:
	s_branch .LBB7_1190
.LBB7_1186:
	s_mov_b32 s1, -1
                                        ; implicit-def: $vgpr18_vgpr19
	s_branch .LBB7_1190
.LBB7_1187:
	s_cmp_eq_u32 s0, 29
	s_cbranch_scc0 .LBB7_1189
; %bb.1188:
	global_load_b64 v[6:7], v[4:5], off
	s_mov_b32 s1, 0
	s_mov_b32 s13, -1
	s_mov_b32 s10, 0
	s_wait_loadcnt 0x0
	v_cvt_f64_u32_e32 v[18:19], v7
	v_cvt_f64_u32_e32 v[6:7], v6
	s_delay_alu instid0(VALU_DEP_2) | instskip(NEXT) | instid1(VALU_DEP_1)
	v_ldexp_f64 v[18:19], v[18:19], 32
	v_add_f64_e32 v[18:19], v[18:19], v[6:7]
	s_branch .LBB7_1191
.LBB7_1189:
	s_mov_b32 s1, -1
                                        ; implicit-def: $vgpr18_vgpr19
.LBB7_1190:
	s_mov_b32 s10, 0
.LBB7_1191:
	s_delay_alu instid0(SALU_CYCLE_1)
	s_and_b32 vcc_lo, exec_lo, s10
	s_cbranch_vccz .LBB7_1209
; %bb.1192:
	s_cmp_lt_i32 s0, 27
	s_cbranch_scc1 .LBB7_1195
; %bb.1193:
	s_cmp_gt_i32 s0, 27
	s_cbranch_scc0 .LBB7_1196
; %bb.1194:
	global_load_b32 v1, v[4:5], off
	s_mov_b32 s10, 0
	s_wait_loadcnt 0x0
	v_cvt_f64_u32_e32 v[18:19], v1
	s_branch .LBB7_1197
.LBB7_1195:
	s_mov_b32 s10, -1
                                        ; implicit-def: $vgpr18_vgpr19
	s_branch .LBB7_1200
.LBB7_1196:
	s_mov_b32 s10, -1
                                        ; implicit-def: $vgpr18_vgpr19
.LBB7_1197:
	s_delay_alu instid0(SALU_CYCLE_1)
	s_and_not1_b32 vcc_lo, exec_lo, s10
	s_cbranch_vccnz .LBB7_1199
; %bb.1198:
	global_load_u16 v1, v[4:5], off
	s_wait_loadcnt 0x0
	v_cvt_f64_u32_e32 v[18:19], v1
.LBB7_1199:
	s_mov_b32 s10, 0
.LBB7_1200:
	s_delay_alu instid0(SALU_CYCLE_1)
	s_and_not1_b32 vcc_lo, exec_lo, s10
	s_cbranch_vccnz .LBB7_1208
; %bb.1201:
	global_load_u8 v1, v[4:5], off
	s_mov_b32 s10, 0
	s_mov_b32 s13, exec_lo
	s_wait_loadcnt 0x0
	v_cmpx_lt_i16_e32 0x7f, v1
	s_xor_b32 s13, exec_lo, s13
	s_cbranch_execz .LBB7_1221
; %bb.1202:
	s_mov_b32 s10, -1
	s_mov_b32 s14, exec_lo
	v_cmpx_eq_u16_e32 0x80, v1
; %bb.1203:
	s_xor_b32 s10, exec_lo, -1
; %bb.1204:
	s_or_b32 exec_lo, exec_lo, s14
	s_delay_alu instid0(SALU_CYCLE_1)
	s_and_b32 s10, s10, exec_lo
	s_or_saveexec_b32 s13, s13
	v_mov_b64_e32 v[18:19], 0x7ff8000020000000
	s_xor_b32 exec_lo, exec_lo, s13
	s_cbranch_execnz .LBB7_1222
.LBB7_1205:
	s_or_b32 exec_lo, exec_lo, s13
	s_and_saveexec_b32 s13, s10
	s_cbranch_execz .LBB7_1207
.LBB7_1206:
	v_and_b32_e32 v3, 0xffff, v1
	s_delay_alu instid0(VALU_DEP_1) | instskip(SKIP_1) | instid1(VALU_DEP_2)
	v_dual_lshlrev_b32 v1, 24, v1 :: v_dual_bitop2_b32 v6, 7, v3 bitop3:0x40
	v_bfe_u32 v11, v3, 3, 4
	v_and_b32_e32 v1, 0x80000000, v1
	s_delay_alu instid0(VALU_DEP_3) | instskip(NEXT) | instid1(VALU_DEP_3)
	v_clz_i32_u32_e32 v7, v6
	v_cmp_eq_u32_e32 vcc_lo, 0, v11
	s_delay_alu instid0(VALU_DEP_2) | instskip(NEXT) | instid1(VALU_DEP_1)
	v_min_u32_e32 v7, 32, v7
	v_subrev_nc_u32_e32 v9, 28, v7
	v_sub_nc_u32_e32 v7, 29, v7
	s_delay_alu instid0(VALU_DEP_2) | instskip(NEXT) | instid1(VALU_DEP_2)
	v_lshlrev_b32_e32 v3, v9, v3
	v_cndmask_b32_e32 v7, v11, v7, vcc_lo
	s_delay_alu instid0(VALU_DEP_2) | instskip(NEXT) | instid1(VALU_DEP_1)
	v_and_b32_e32 v3, 7, v3
	v_cndmask_b32_e32 v3, v6, v3, vcc_lo
	s_delay_alu instid0(VALU_DEP_3) | instskip(NEXT) | instid1(VALU_DEP_2)
	v_lshl_add_u32 v6, v7, 23, 0x3b800000
	v_lshlrev_b32_e32 v3, 20, v3
	s_delay_alu instid0(VALU_DEP_1) | instskip(NEXT) | instid1(VALU_DEP_1)
	v_or3_b32 v1, v1, v6, v3
	v_cvt_f64_f32_e32 v[18:19], v1
.LBB7_1207:
	s_or_b32 exec_lo, exec_lo, s13
.LBB7_1208:
	s_mov_b32 s13, -1
.LBB7_1209:
	s_branch .LBB7_1241
.LBB7_1210:
	s_cmp_gt_i32 s0, 22
	s_cbranch_scc0 .LBB7_1220
; %bb.1211:
	s_cmp_lt_i32 s0, 24
	s_cbranch_scc1 .LBB7_1223
; %bb.1212:
	s_cmp_gt_i32 s0, 24
	s_cbranch_scc0 .LBB7_1224
; %bb.1213:
	global_load_u8 v1, v[4:5], off
	s_mov_b32 s10, 0
	s_mov_b32 s12, exec_lo
	s_wait_loadcnt 0x0
	v_cmpx_lt_i16_e32 0x7f, v1
	s_xor_b32 s12, exec_lo, s12
	s_cbranch_execz .LBB7_1235
; %bb.1214:
	s_mov_b32 s10, -1
	s_mov_b32 s13, exec_lo
	v_cmpx_eq_u16_e32 0x80, v1
; %bb.1215:
	s_xor_b32 s10, exec_lo, -1
; %bb.1216:
	s_or_b32 exec_lo, exec_lo, s13
	s_delay_alu instid0(SALU_CYCLE_1)
	s_and_b32 s10, s10, exec_lo
	s_or_saveexec_b32 s12, s12
	v_mov_b64_e32 v[18:19], 0x7ff8000020000000
	s_xor_b32 exec_lo, exec_lo, s12
	s_cbranch_execnz .LBB7_1236
.LBB7_1217:
	s_or_b32 exec_lo, exec_lo, s12
	s_and_saveexec_b32 s12, s10
	s_cbranch_execz .LBB7_1219
.LBB7_1218:
	v_and_b32_e32 v3, 0xffff, v1
	s_delay_alu instid0(VALU_DEP_1) | instskip(SKIP_1) | instid1(VALU_DEP_2)
	v_dual_lshlrev_b32 v1, 24, v1 :: v_dual_bitop2_b32 v6, 3, v3 bitop3:0x40
	v_bfe_u32 v11, v3, 2, 5
	v_and_b32_e32 v1, 0x80000000, v1
	s_delay_alu instid0(VALU_DEP_3) | instskip(NEXT) | instid1(VALU_DEP_3)
	v_clz_i32_u32_e32 v7, v6
	v_cmp_eq_u32_e32 vcc_lo, 0, v11
	s_delay_alu instid0(VALU_DEP_2) | instskip(NEXT) | instid1(VALU_DEP_1)
	v_min_u32_e32 v7, 32, v7
	v_subrev_nc_u32_e32 v9, 29, v7
	v_sub_nc_u32_e32 v7, 30, v7
	s_delay_alu instid0(VALU_DEP_2) | instskip(NEXT) | instid1(VALU_DEP_2)
	v_lshlrev_b32_e32 v3, v9, v3
	v_cndmask_b32_e32 v7, v11, v7, vcc_lo
	s_delay_alu instid0(VALU_DEP_2) | instskip(NEXT) | instid1(VALU_DEP_1)
	v_and_b32_e32 v3, 3, v3
	v_cndmask_b32_e32 v3, v6, v3, vcc_lo
	s_delay_alu instid0(VALU_DEP_3) | instskip(NEXT) | instid1(VALU_DEP_2)
	v_lshl_add_u32 v6, v7, 23, 0x37800000
	v_lshlrev_b32_e32 v3, 21, v3
	s_delay_alu instid0(VALU_DEP_1) | instskip(NEXT) | instid1(VALU_DEP_1)
	v_or3_b32 v1, v1, v6, v3
	v_cvt_f64_f32_e32 v[18:19], v1
.LBB7_1219:
	s_or_b32 exec_lo, exec_lo, s12
	s_mov_b32 s10, 0
	s_branch .LBB7_1225
.LBB7_1220:
                                        ; implicit-def: $vgpr18_vgpr19
	s_mov_b32 s12, 0
	s_branch .LBB7_1231
.LBB7_1221:
	s_or_saveexec_b32 s13, s13
	v_mov_b64_e32 v[18:19], 0x7ff8000020000000
	s_xor_b32 exec_lo, exec_lo, s13
	s_cbranch_execz .LBB7_1205
.LBB7_1222:
	v_cmp_ne_u16_e32 vcc_lo, 0, v1
	v_mov_b64_e32 v[18:19], 0
	s_and_not1_b32 s10, s10, exec_lo
	s_and_b32 s14, vcc_lo, exec_lo
	s_delay_alu instid0(SALU_CYCLE_1)
	s_or_b32 s10, s10, s14
	s_or_b32 exec_lo, exec_lo, s13
	s_and_saveexec_b32 s13, s10
	s_cbranch_execnz .LBB7_1206
	s_branch .LBB7_1207
.LBB7_1223:
	s_mov_b32 s10, -1
                                        ; implicit-def: $vgpr18_vgpr19
	s_branch .LBB7_1228
.LBB7_1224:
	s_mov_b32 s10, -1
                                        ; implicit-def: $vgpr18_vgpr19
.LBB7_1225:
	s_delay_alu instid0(SALU_CYCLE_1)
	s_and_b32 vcc_lo, exec_lo, s10
	s_cbranch_vccz .LBB7_1227
; %bb.1226:
	global_load_u8 v1, v[4:5], off
	s_wait_loadcnt 0x0
	v_lshlrev_b32_e32 v1, 24, v1
	s_delay_alu instid0(VALU_DEP_1) | instskip(NEXT) | instid1(VALU_DEP_1)
	v_and_b32_e32 v3, 0x7f000000, v1
	v_clz_i32_u32_e32 v6, v3
	v_add_nc_u32_e32 v9, 0x1000000, v3
	v_cmp_ne_u32_e32 vcc_lo, 0, v3
	s_delay_alu instid0(VALU_DEP_3) | instskip(NEXT) | instid1(VALU_DEP_1)
	v_min_u32_e32 v6, 32, v6
	v_sub_nc_u32_e64 v6, v6, 4 clamp
	s_wait_xcnt 0x1
	s_delay_alu instid0(VALU_DEP_1) | instskip(NEXT) | instid1(VALU_DEP_1)
	v_dual_lshlrev_b32 v7, v6, v3 :: v_dual_lshlrev_b32 v6, 23, v6
	v_lshrrev_b32_e32 v7, 4, v7
	s_delay_alu instid0(VALU_DEP_1) | instskip(NEXT) | instid1(VALU_DEP_1)
	v_dual_sub_nc_u32 v6, v7, v6 :: v_dual_ashrrev_i32 v7, 8, v9
	v_add_nc_u32_e32 v6, 0x3c000000, v6
	s_delay_alu instid0(VALU_DEP_1) | instskip(NEXT) | instid1(VALU_DEP_1)
	v_and_or_b32 v6, 0x7f800000, v7, v6
	v_cndmask_b32_e32 v3, 0, v6, vcc_lo
	s_delay_alu instid0(VALU_DEP_1) | instskip(NEXT) | instid1(VALU_DEP_1)
	v_and_or_b32 v1, 0x80000000, v1, v3
	v_cvt_f64_f32_e32 v[18:19], v1
.LBB7_1227:
	s_mov_b32 s10, 0
.LBB7_1228:
	s_delay_alu instid0(SALU_CYCLE_1)
	s_and_not1_b32 vcc_lo, exec_lo, s10
	s_cbranch_vccnz .LBB7_1230
; %bb.1229:
	global_load_u8 v1, v[4:5], off
	s_wait_loadcnt 0x0
	v_lshlrev_b32_e32 v3, 25, v1
	v_lshlrev_b16 v1, 8, v1
	s_wait_xcnt 0x1
	s_delay_alu instid0(VALU_DEP_1) | instskip(SKIP_1) | instid1(VALU_DEP_2)
	v_and_or_b32 v7, 0x7f00, v1, 0.5
	v_bfe_i32 v1, v1, 0, 16
	v_add_f32_e32 v7, -0.5, v7
	v_lshrrev_b32_e32 v6, 4, v3
	v_cmp_gt_u32_e32 vcc_lo, 0x8000000, v3
	s_delay_alu instid0(VALU_DEP_2) | instskip(NEXT) | instid1(VALU_DEP_1)
	v_or_b32_e32 v6, 0x70000000, v6
	v_mul_f32_e32 v6, 0x7800000, v6
	s_delay_alu instid0(VALU_DEP_1) | instskip(NEXT) | instid1(VALU_DEP_1)
	v_cndmask_b32_e32 v3, v6, v7, vcc_lo
	v_and_or_b32 v1, 0x80000000, v1, v3
	s_delay_alu instid0(VALU_DEP_1)
	v_cvt_f64_f32_e32 v[18:19], v1
.LBB7_1230:
	s_mov_b32 s13, -1
	s_mov_b32 s12, 0
	s_cbranch_execnz .LBB7_1241
.LBB7_1231:
	s_cmp_gt_i32 s0, 14
	s_cbranch_scc0 .LBB7_1234
; %bb.1232:
	s_cmp_eq_u32 s0, 15
	s_cbranch_scc0 .LBB7_1237
; %bb.1233:
	global_load_u16 v1, v[4:5], off
	s_mov_b32 s1, 0
	s_mov_b32 s13, -1
	s_wait_loadcnt 0x0
	v_lshlrev_b32_e32 v1, 16, v1
	s_delay_alu instid0(VALU_DEP_1)
	v_cvt_f64_f32_e32 v[18:19], v1
	s_branch .LBB7_1238
.LBB7_1234:
	s_mov_b32 s10, -1
                                        ; implicit-def: $vgpr18_vgpr19
	s_branch .LBB7_1239
.LBB7_1235:
	s_or_saveexec_b32 s12, s12
	v_mov_b64_e32 v[18:19], 0x7ff8000020000000
	s_xor_b32 exec_lo, exec_lo, s12
	s_cbranch_execz .LBB7_1217
.LBB7_1236:
	v_cmp_ne_u16_e32 vcc_lo, 0, v1
	v_mov_b64_e32 v[18:19], 0
	s_and_not1_b32 s10, s10, exec_lo
	s_and_b32 s13, vcc_lo, exec_lo
	s_delay_alu instid0(SALU_CYCLE_1)
	s_or_b32 s10, s10, s13
	s_or_b32 exec_lo, exec_lo, s12
	s_and_saveexec_b32 s12, s10
	s_cbranch_execnz .LBB7_1218
	s_branch .LBB7_1219
.LBB7_1237:
	s_mov_b32 s1, -1
                                        ; implicit-def: $vgpr18_vgpr19
.LBB7_1238:
	s_mov_b32 s10, 0
.LBB7_1239:
	s_delay_alu instid0(SALU_CYCLE_1)
	s_and_b32 vcc_lo, exec_lo, s10
	s_cbranch_vccz .LBB7_1241
; %bb.1240:
	s_cmp_lg_u32 s0, 11
	s_mov_b32 s12, -1
	s_cselect_b32 s1, -1, 0
.LBB7_1241:
	s_delay_alu instid0(SALU_CYCLE_1)
	s_and_b32 vcc_lo, exec_lo, s1
	s_mov_b32 s10, s8
	s_cbranch_vccnz .LBB7_1304
; %bb.1242:
	s_and_not1_b32 vcc_lo, exec_lo, s12
	s_cbranch_vccnz .LBB7_1244
.LBB7_1243:
	global_load_u8 v1, v[4:5], off
	v_mov_b32_e32 v18, 0
	s_mov_b32 s13, -1
	s_wait_loadcnt 0x0
	v_cmp_ne_u16_e32 vcc_lo, 0, v1
	v_cndmask_b32_e64 v19, 0, 0x3ff00000, vcc_lo
.LBB7_1244:
	s_branch .LBB7_1173
.LBB7_1245:
	s_and_b32 s0, 0xffff, s11
	s_delay_alu instid0(SALU_CYCLE_1)
	s_cmp_lt_i32 s0, 5
	s_cbranch_scc1 .LBB7_1250
; %bb.1246:
	s_cmp_lt_i32 s0, 8
	s_cbranch_scc1 .LBB7_1251
; %bb.1247:
	;; [unrolled: 3-line block ×3, first 2 shown]
	s_cmp_gt_i32 s0, 9
	s_cbranch_scc0 .LBB7_1253
; %bb.1249:
	global_load_b64 v[18:19], v[4:5], off
	s_mov_b32 s1, 0
	s_branch .LBB7_1254
.LBB7_1250:
                                        ; implicit-def: $vgpr18_vgpr19
	s_branch .LBB7_1271
.LBB7_1251:
                                        ; implicit-def: $vgpr18_vgpr19
	s_branch .LBB7_1260
.LBB7_1252:
	s_mov_b32 s1, -1
                                        ; implicit-def: $vgpr18_vgpr19
	s_branch .LBB7_1257
.LBB7_1253:
	s_mov_b32 s1, -1
                                        ; implicit-def: $vgpr18_vgpr19
.LBB7_1254:
	s_delay_alu instid0(SALU_CYCLE_1)
	s_and_not1_b32 vcc_lo, exec_lo, s1
	s_cbranch_vccnz .LBB7_1256
; %bb.1255:
	global_load_b32 v1, v[4:5], off
	s_wait_loadcnt 0x0
	v_cvt_f64_f32_e32 v[18:19], v1
.LBB7_1256:
	s_mov_b32 s1, 0
.LBB7_1257:
	s_delay_alu instid0(SALU_CYCLE_1)
	s_and_not1_b32 vcc_lo, exec_lo, s1
	s_cbranch_vccnz .LBB7_1259
; %bb.1258:
	global_load_b32 v1, v[4:5], off
	s_wait_loadcnt 0x0
	v_cvt_f32_f16_e32 v1, v1
	s_delay_alu instid0(VALU_DEP_1)
	v_cvt_f64_f32_e32 v[18:19], v1
.LBB7_1259:
	s_cbranch_execnz .LBB7_1270
.LBB7_1260:
	s_cmp_lt_i32 s0, 6
	s_cbranch_scc1 .LBB7_1263
; %bb.1261:
	s_cmp_gt_i32 s0, 6
	s_cbranch_scc0 .LBB7_1264
; %bb.1262:
	s_wait_loadcnt 0x0
	global_load_b64 v[18:19], v[4:5], off
	s_mov_b32 s1, 0
	s_branch .LBB7_1265
.LBB7_1263:
	s_mov_b32 s1, -1
                                        ; implicit-def: $vgpr18_vgpr19
	s_branch .LBB7_1268
.LBB7_1264:
	s_mov_b32 s1, -1
                                        ; implicit-def: $vgpr18_vgpr19
.LBB7_1265:
	s_delay_alu instid0(SALU_CYCLE_1)
	s_and_not1_b32 vcc_lo, exec_lo, s1
	s_cbranch_vccnz .LBB7_1267
; %bb.1266:
	global_load_b32 v1, v[4:5], off
	s_wait_loadcnt 0x0
	v_cvt_f64_f32_e32 v[18:19], v1
.LBB7_1267:
	s_mov_b32 s1, 0
.LBB7_1268:
	s_delay_alu instid0(SALU_CYCLE_1)
	s_and_not1_b32 vcc_lo, exec_lo, s1
	s_cbranch_vccnz .LBB7_1270
; %bb.1269:
	global_load_u16 v1, v[4:5], off
	s_wait_loadcnt 0x0
	v_cvt_f32_f16_e32 v1, v1
	s_delay_alu instid0(VALU_DEP_1)
	v_cvt_f64_f32_e32 v[18:19], v1
.LBB7_1270:
	s_cbranch_execnz .LBB7_1289
.LBB7_1271:
	s_cmp_lt_i32 s0, 2
	s_cbranch_scc1 .LBB7_1275
; %bb.1272:
	s_cmp_lt_i32 s0, 3
	s_cbranch_scc1 .LBB7_1276
; %bb.1273:
	s_cmp_gt_i32 s0, 3
	s_cbranch_scc0 .LBB7_1277
; %bb.1274:
	global_load_b64 v[6:7], v[4:5], off
	s_mov_b32 s1, 0
	s_wait_loadcnt 0x0
	v_cvt_f64_i32_e32 v[18:19], v7
	v_cvt_f64_u32_e32 v[6:7], v6
	s_delay_alu instid0(VALU_DEP_2) | instskip(NEXT) | instid1(VALU_DEP_1)
	v_ldexp_f64 v[18:19], v[18:19], 32
	v_add_f64_e32 v[18:19], v[18:19], v[6:7]
	s_branch .LBB7_1278
.LBB7_1275:
                                        ; implicit-def: $vgpr18_vgpr19
	s_branch .LBB7_1284
.LBB7_1276:
	s_mov_b32 s1, -1
                                        ; implicit-def: $vgpr18_vgpr19
	s_branch .LBB7_1281
.LBB7_1277:
	s_mov_b32 s1, -1
                                        ; implicit-def: $vgpr18_vgpr19
.LBB7_1278:
	s_delay_alu instid0(SALU_CYCLE_1)
	s_and_not1_b32 vcc_lo, exec_lo, s1
	s_cbranch_vccnz .LBB7_1280
; %bb.1279:
	global_load_b32 v1, v[4:5], off
	s_wait_loadcnt 0x0
	v_cvt_f64_i32_e32 v[18:19], v1
.LBB7_1280:
	s_mov_b32 s1, 0
.LBB7_1281:
	s_delay_alu instid0(SALU_CYCLE_1)
	s_and_not1_b32 vcc_lo, exec_lo, s1
	s_cbranch_vccnz .LBB7_1283
; %bb.1282:
	global_load_i16 v1, v[4:5], off
	s_wait_loadcnt 0x0
	v_cvt_f64_i32_e32 v[18:19], v1
.LBB7_1283:
	s_cbranch_execnz .LBB7_1289
.LBB7_1284:
	s_cmp_gt_i32 s0, 0
	s_mov_b32 s0, 0
	s_cbranch_scc0 .LBB7_1286
; %bb.1285:
	global_load_i8 v1, v[4:5], off
	s_wait_loadcnt 0x0
	v_cvt_f64_i32_e32 v[18:19], v1
	s_branch .LBB7_1287
.LBB7_1286:
	s_mov_b32 s0, -1
                                        ; implicit-def: $vgpr18_vgpr19
.LBB7_1287:
	s_delay_alu instid0(SALU_CYCLE_1)
	s_and_not1_b32 vcc_lo, exec_lo, s0
	s_cbranch_vccnz .LBB7_1289
; %bb.1288:
	global_load_u8 v1, v[4:5], off
	s_wait_loadcnt 0x0
	v_cvt_f64_u32_e32 v[18:19], v1
.LBB7_1289:
.LBB7_1290:
	s_load_b64 s[0:1], s[2:3], 0x158
	v_mov_b64_e32 v[6:7], 1.0
	s_mov_b32 s12, exec_lo
	s_wait_loadcnt 0x0
	s_wait_kmcnt 0x0
	s_delay_alu instid0(VALU_DEP_2)
	v_cmpx_lt_f64_e32 s[0:1], v[18:19]
	s_cbranch_execz .LBB7_1292
; %bb.1291:
	v_add_f64_e32 v[4:5], 0x3e7ad7f29abcaf48, v[18:19]
	s_delay_alu instid0(VALU_DEP_1) | instskip(NEXT) | instid1(VALU_DEP_1)
	v_div_scale_f64 v[6:7], null, v[4:5], v[4:5], s[0:1]
	v_rcp_f64_e32 v[18:19], v[6:7]
	v_nop
	s_delay_alu instid0(TRANS32_DEP_1) | instskip(NEXT) | instid1(VALU_DEP_1)
	v_fma_f64 v[20:21], -v[6:7], v[18:19], 1.0
	v_fmac_f64_e32 v[18:19], v[18:19], v[20:21]
	s_delay_alu instid0(VALU_DEP_1) | instskip(NEXT) | instid1(VALU_DEP_1)
	v_fma_f64 v[20:21], -v[6:7], v[18:19], 1.0
	v_fmac_f64_e32 v[18:19], v[18:19], v[20:21]
	v_div_scale_f64 v[20:21], vcc_lo, s[0:1], v[4:5], s[0:1]
	s_delay_alu instid0(VALU_DEP_1) | instskip(NEXT) | instid1(VALU_DEP_1)
	v_mul_f64_e32 v[22:23], v[20:21], v[18:19]
	v_fma_f64 v[6:7], -v[6:7], v[22:23], v[20:21]
	s_delay_alu instid0(VALU_DEP_1) | instskip(NEXT) | instid1(VALU_DEP_1)
	v_div_fmas_f64 v[6:7], v[6:7], v[18:19], v[22:23]
	v_div_fixup_f64 v[6:7], v[6:7], v[4:5], s[0:1]
.LBB7_1292:
	s_or_b32 exec_lo, exec_lo, s12
	v_mov_b32_e32 v17, 0
	s_and_b32 s11, 0xffff, s11
	s_delay_alu instid0(SALU_CYCLE_1) | instskip(NEXT) | instid1(VALU_DEP_1)
	s_cmp_lt_i32 s11, 11
	v_add_nc_u64_e32 v[4:5], s[6:7], v[16:17]
	s_cbranch_scc1 .LBB7_1299
; %bb.1293:
	s_cmp_gt_i32 s11, 25
	s_mov_b32 s13, 0
	s_cbranch_scc0 .LBB7_1301
; %bb.1294:
	s_cmp_gt_i32 s11, 28
	s_cbranch_scc0 .LBB7_1302
; %bb.1295:
	s_cmp_gt_i32 s11, 43
	;; [unrolled: 3-line block ×3, first 2 shown]
	s_cbranch_scc0 .LBB7_1305
; %bb.1297:
	s_cmp_eq_u32 s11, 46
	s_mov_b32 s15, 0
	s_cbranch_scc0 .LBB7_1308
; %bb.1298:
	global_load_b32 v1, v[4:5], off
	s_mov_b32 s12, 0
	s_mov_b32 s14, -1
	s_wait_loadcnt 0x0
	v_lshlrev_b32_e32 v1, 16, v1
	s_delay_alu instid0(VALU_DEP_1)
	v_cvt_f64_f32_e32 v[16:17], v1
	s_branch .LBB7_1310
.LBB7_1299:
	s_mov_b32 s14, 0
                                        ; implicit-def: $vgpr16_vgpr17
	s_cbranch_execnz .LBB7_1375
.LBB7_1300:
	s_and_not1_b32 vcc_lo, exec_lo, s14
	s_cbranch_vccnz .LBB7_1767
	s_branch .LBB7_1422
.LBB7_1301:
	s_mov_b32 s14, 0
	s_mov_b32 s12, 0
                                        ; implicit-def: $vgpr16_vgpr17
	s_cbranch_execnz .LBB7_1339
	s_branch .LBB7_1371
.LBB7_1302:
	s_mov_b32 s15, -1
	s_mov_b32 s14, 0
	s_mov_b32 s12, 0
                                        ; implicit-def: $vgpr16_vgpr17
	s_branch .LBB7_1320
.LBB7_1303:
	s_mov_b32 s15, -1
	s_mov_b32 s14, 0
	s_mov_b32 s12, 0
                                        ; implicit-def: $vgpr16_vgpr17
	s_branch .LBB7_1315
.LBB7_1304:
	s_or_b32 s10, s8, exec_lo
	s_trap 2
	s_cbranch_execz .LBB7_1243
	s_branch .LBB7_1244
.LBB7_1305:
	s_mov_b32 s15, -1
	s_mov_b32 s14, 0
	s_mov_b32 s12, 0
	s_branch .LBB7_1309
.LBB7_1306:
	s_and_not1_saveexec_b32 s10, s10
	s_cbranch_execz .LBB7_1029
.LBB7_1307:
	v_add_f32_e64 v3, 0x42800000, |v2|
	s_and_not1_b32 s9, s9, exec_lo
	s_delay_alu instid0(VALU_DEP_1) | instskip(NEXT) | instid1(VALU_DEP_1)
	v_and_b32_e32 v3, 0xff, v3
	v_cmp_ne_u32_e32 vcc_lo, 0, v3
	s_and_b32 s11, vcc_lo, exec_lo
	s_delay_alu instid0(SALU_CYCLE_1)
	s_or_b32 s9, s9, s11
	s_or_b32 exec_lo, exec_lo, s10
	v_mov_b32_e32 v6, 0
	s_and_saveexec_b32 s10, s9
	s_cbranch_execnz .LBB7_1030
	s_branch .LBB7_1031
.LBB7_1308:
	s_mov_b32 s12, -1
	s_mov_b32 s14, 0
.LBB7_1309:
                                        ; implicit-def: $vgpr16_vgpr17
.LBB7_1310:
	s_and_b32 vcc_lo, exec_lo, s15
	s_cbranch_vccz .LBB7_1314
; %bb.1311:
	s_cmp_eq_u32 s11, 44
	s_cbranch_scc0 .LBB7_1313
; %bb.1312:
	global_load_u8 v1, v[4:5], off
	s_mov_b32 s12, 0
	s_mov_b32 s14, -1
	s_wait_loadcnt 0x0
	v_lshlrev_b32_e32 v3, 23, v1
	v_cmp_ne_u32_e32 vcc_lo, 0xff, v1
	s_delay_alu instid0(VALU_DEP_2) | instskip(NEXT) | instid1(VALU_DEP_1)
	v_cvt_f64_f32_e32 v[16:17], v3
	v_cndmask_b32_e32 v3, 0x20000000, v16, vcc_lo
	s_delay_alu instid0(VALU_DEP_2) | instskip(SKIP_1) | instid1(VALU_DEP_2)
	v_cndmask_b32_e32 v9, 0x7ff80000, v17, vcc_lo
	v_cmp_ne_u32_e32 vcc_lo, 0, v1
	v_cndmask_b32_e32 v17, 0x38000000, v9, vcc_lo
	s_delay_alu instid0(VALU_DEP_4)
	v_cndmask_b32_e32 v16, 0, v3, vcc_lo
	s_branch .LBB7_1314
.LBB7_1313:
	s_mov_b32 s12, -1
                                        ; implicit-def: $vgpr16_vgpr17
.LBB7_1314:
	s_mov_b32 s15, 0
.LBB7_1315:
	s_delay_alu instid0(SALU_CYCLE_1)
	s_and_b32 vcc_lo, exec_lo, s15
	s_cbranch_vccz .LBB7_1319
; %bb.1316:
	s_cmp_eq_u32 s11, 29
	s_cbranch_scc0 .LBB7_1318
; %bb.1317:
	global_load_b64 v[16:17], v[4:5], off
	s_mov_b32 s12, 0
	s_mov_b32 s14, -1
	s_mov_b32 s15, 0
	s_wait_loadcnt 0x0
	v_cvt_f64_u32_e32 v[18:19], v17
	v_cvt_f64_u32_e32 v[16:17], v16
	s_delay_alu instid0(VALU_DEP_2) | instskip(NEXT) | instid1(VALU_DEP_1)
	v_ldexp_f64 v[18:19], v[18:19], 32
	v_add_f64_e32 v[16:17], v[18:19], v[16:17]
	s_branch .LBB7_1320
.LBB7_1318:
	s_mov_b32 s12, -1
                                        ; implicit-def: $vgpr16_vgpr17
.LBB7_1319:
	s_mov_b32 s15, 0
.LBB7_1320:
	s_delay_alu instid0(SALU_CYCLE_1)
	s_and_b32 vcc_lo, exec_lo, s15
	s_cbranch_vccz .LBB7_1338
; %bb.1321:
	s_cmp_lt_i32 s11, 27
	s_cbranch_scc1 .LBB7_1324
; %bb.1322:
	s_cmp_gt_i32 s11, 27
	s_cbranch_scc0 .LBB7_1325
; %bb.1323:
	global_load_b32 v1, v[4:5], off
	s_mov_b32 s14, 0
	s_wait_loadcnt 0x0
	v_cvt_f64_u32_e32 v[16:17], v1
	s_branch .LBB7_1326
.LBB7_1324:
	s_mov_b32 s14, -1
                                        ; implicit-def: $vgpr16_vgpr17
	s_branch .LBB7_1329
.LBB7_1325:
	s_mov_b32 s14, -1
                                        ; implicit-def: $vgpr16_vgpr17
.LBB7_1326:
	s_delay_alu instid0(SALU_CYCLE_1)
	s_and_not1_b32 vcc_lo, exec_lo, s14
	s_cbranch_vccnz .LBB7_1328
; %bb.1327:
	global_load_u16 v1, v[4:5], off
	s_wait_loadcnt 0x0
	v_cvt_f64_u32_e32 v[16:17], v1
.LBB7_1328:
	s_mov_b32 s14, 0
.LBB7_1329:
	s_delay_alu instid0(SALU_CYCLE_1)
	s_and_not1_b32 vcc_lo, exec_lo, s14
	s_cbranch_vccnz .LBB7_1337
; %bb.1330:
	global_load_u8 v1, v[4:5], off
	s_mov_b32 s14, 0
	s_mov_b32 s15, exec_lo
	s_wait_loadcnt 0x0
	v_cmpx_lt_i16_e32 0x7f, v1
	s_xor_b32 s15, exec_lo, s15
	s_cbranch_execz .LBB7_1350
; %bb.1331:
	s_mov_b32 s14, -1
	s_mov_b32 s16, exec_lo
	v_cmpx_eq_u16_e32 0x80, v1
; %bb.1332:
	s_xor_b32 s14, exec_lo, -1
; %bb.1333:
	s_or_b32 exec_lo, exec_lo, s16
	s_delay_alu instid0(SALU_CYCLE_1)
	s_and_b32 s14, s14, exec_lo
	s_or_saveexec_b32 s15, s15
	v_mov_b64_e32 v[16:17], 0x7ff8000020000000
	s_xor_b32 exec_lo, exec_lo, s15
	s_cbranch_execnz .LBB7_1351
.LBB7_1334:
	s_or_b32 exec_lo, exec_lo, s15
	s_and_saveexec_b32 s15, s14
	s_cbranch_execz .LBB7_1336
.LBB7_1335:
	v_and_b32_e32 v3, 0xffff, v1
	s_delay_alu instid0(VALU_DEP_1) | instskip(SKIP_1) | instid1(VALU_DEP_2)
	v_dual_lshlrev_b32 v1, 24, v1 :: v_dual_bitop2_b32 v9, 7, v3 bitop3:0x40
	v_bfe_u32 v15, v3, 3, 4
	v_and_b32_e32 v1, 0x80000000, v1
	s_delay_alu instid0(VALU_DEP_3) | instskip(NEXT) | instid1(VALU_DEP_3)
	v_clz_i32_u32_e32 v11, v9
	v_cmp_eq_u32_e32 vcc_lo, 0, v15
	s_delay_alu instid0(VALU_DEP_2) | instskip(NEXT) | instid1(VALU_DEP_1)
	v_min_u32_e32 v11, 32, v11
	v_subrev_nc_u32_e32 v13, 28, v11
	v_sub_nc_u32_e32 v11, 29, v11
	s_delay_alu instid0(VALU_DEP_2) | instskip(NEXT) | instid1(VALU_DEP_2)
	v_lshlrev_b32_e32 v3, v13, v3
	v_cndmask_b32_e32 v11, v15, v11, vcc_lo
	s_delay_alu instid0(VALU_DEP_2) | instskip(NEXT) | instid1(VALU_DEP_1)
	v_and_b32_e32 v3, 7, v3
	v_cndmask_b32_e32 v3, v9, v3, vcc_lo
	s_delay_alu instid0(VALU_DEP_3) | instskip(NEXT) | instid1(VALU_DEP_2)
	v_lshl_add_u32 v9, v11, 23, 0x3b800000
	v_lshlrev_b32_e32 v3, 20, v3
	s_delay_alu instid0(VALU_DEP_1) | instskip(NEXT) | instid1(VALU_DEP_1)
	v_or3_b32 v1, v1, v9, v3
	v_cvt_f64_f32_e32 v[16:17], v1
.LBB7_1336:
	s_or_b32 exec_lo, exec_lo, s15
.LBB7_1337:
	s_mov_b32 s14, -1
.LBB7_1338:
	s_branch .LBB7_1371
.LBB7_1339:
	s_cmp_gt_i32 s11, 22
	s_cbranch_scc0 .LBB7_1349
; %bb.1340:
	s_cmp_lt_i32 s11, 24
	s_cbranch_scc1 .LBB7_1352
; %bb.1341:
	s_cmp_gt_i32 s11, 24
	s_cbranch_scc0 .LBB7_1353
; %bb.1342:
	global_load_u8 v1, v[4:5], off
	s_mov_b32 s14, exec_lo
	s_wait_loadcnt 0x0
	v_cmpx_lt_i16_e32 0x7f, v1
	s_xor_b32 s14, exec_lo, s14
	s_cbranch_execz .LBB7_1365
; %bb.1343:
	s_mov_b32 s13, -1
	s_mov_b32 s15, exec_lo
	v_cmpx_eq_u16_e32 0x80, v1
; %bb.1344:
	s_xor_b32 s13, exec_lo, -1
; %bb.1345:
	s_or_b32 exec_lo, exec_lo, s15
	s_delay_alu instid0(SALU_CYCLE_1)
	s_and_b32 s13, s13, exec_lo
	s_or_saveexec_b32 s14, s14
	v_mov_b64_e32 v[16:17], 0x7ff8000020000000
	s_xor_b32 exec_lo, exec_lo, s14
	s_cbranch_execnz .LBB7_1366
.LBB7_1346:
	s_or_b32 exec_lo, exec_lo, s14
	s_and_saveexec_b32 s14, s13
	s_cbranch_execz .LBB7_1348
.LBB7_1347:
	v_and_b32_e32 v3, 0xffff, v1
	s_delay_alu instid0(VALU_DEP_1) | instskip(SKIP_1) | instid1(VALU_DEP_2)
	v_dual_lshlrev_b32 v1, 24, v1 :: v_dual_bitop2_b32 v9, 3, v3 bitop3:0x40
	v_bfe_u32 v15, v3, 2, 5
	v_and_b32_e32 v1, 0x80000000, v1
	s_delay_alu instid0(VALU_DEP_3) | instskip(NEXT) | instid1(VALU_DEP_3)
	v_clz_i32_u32_e32 v11, v9
	v_cmp_eq_u32_e32 vcc_lo, 0, v15
	s_delay_alu instid0(VALU_DEP_2) | instskip(NEXT) | instid1(VALU_DEP_1)
	v_min_u32_e32 v11, 32, v11
	v_subrev_nc_u32_e32 v13, 29, v11
	v_sub_nc_u32_e32 v11, 30, v11
	s_delay_alu instid0(VALU_DEP_2) | instskip(NEXT) | instid1(VALU_DEP_2)
	v_lshlrev_b32_e32 v3, v13, v3
	v_cndmask_b32_e32 v11, v15, v11, vcc_lo
	s_delay_alu instid0(VALU_DEP_2) | instskip(NEXT) | instid1(VALU_DEP_1)
	v_and_b32_e32 v3, 3, v3
	v_cndmask_b32_e32 v3, v9, v3, vcc_lo
	s_delay_alu instid0(VALU_DEP_3) | instskip(NEXT) | instid1(VALU_DEP_2)
	v_lshl_add_u32 v9, v11, 23, 0x37800000
	v_lshlrev_b32_e32 v3, 21, v3
	s_delay_alu instid0(VALU_DEP_1) | instskip(NEXT) | instid1(VALU_DEP_1)
	v_or3_b32 v1, v1, v9, v3
	v_cvt_f64_f32_e32 v[16:17], v1
.LBB7_1348:
	s_or_b32 exec_lo, exec_lo, s14
	s_mov_b32 s13, 0
	s_branch .LBB7_1354
.LBB7_1349:
	s_mov_b32 s13, -1
                                        ; implicit-def: $vgpr16_vgpr17
	s_branch .LBB7_1360
.LBB7_1350:
	s_or_saveexec_b32 s15, s15
	v_mov_b64_e32 v[16:17], 0x7ff8000020000000
	s_xor_b32 exec_lo, exec_lo, s15
	s_cbranch_execz .LBB7_1334
.LBB7_1351:
	v_cmp_ne_u16_e32 vcc_lo, 0, v1
	v_mov_b64_e32 v[16:17], 0
	s_and_not1_b32 s14, s14, exec_lo
	s_and_b32 s16, vcc_lo, exec_lo
	s_delay_alu instid0(SALU_CYCLE_1)
	s_or_b32 s14, s14, s16
	s_or_b32 exec_lo, exec_lo, s15
	s_and_saveexec_b32 s15, s14
	s_cbranch_execnz .LBB7_1335
	s_branch .LBB7_1336
.LBB7_1352:
	s_mov_b32 s13, -1
                                        ; implicit-def: $vgpr16_vgpr17
	s_branch .LBB7_1357
.LBB7_1353:
	s_mov_b32 s13, -1
                                        ; implicit-def: $vgpr16_vgpr17
.LBB7_1354:
	s_delay_alu instid0(SALU_CYCLE_1)
	s_and_b32 vcc_lo, exec_lo, s13
	s_cbranch_vccz .LBB7_1356
; %bb.1355:
	global_load_u8 v1, v[4:5], off
	s_wait_loadcnt 0x0
	v_lshlrev_b32_e32 v1, 24, v1
	s_delay_alu instid0(VALU_DEP_1) | instskip(NEXT) | instid1(VALU_DEP_1)
	v_and_b32_e32 v3, 0x7f000000, v1
	v_clz_i32_u32_e32 v9, v3
	v_add_nc_u32_e32 v13, 0x1000000, v3
	v_cmp_ne_u32_e32 vcc_lo, 0, v3
	s_delay_alu instid0(VALU_DEP_3) | instskip(NEXT) | instid1(VALU_DEP_1)
	v_min_u32_e32 v9, 32, v9
	v_sub_nc_u32_e64 v9, v9, 4 clamp
	s_delay_alu instid0(VALU_DEP_1) | instskip(NEXT) | instid1(VALU_DEP_1)
	v_dual_lshlrev_b32 v11, v9, v3 :: v_dual_lshlrev_b32 v9, 23, v9
	v_lshrrev_b32_e32 v11, 4, v11
	s_delay_alu instid0(VALU_DEP_1) | instskip(SKIP_1) | instid1(VALU_DEP_2)
	v_sub_nc_u32_e32 v9, v11, v9
	v_ashrrev_i32_e32 v11, 8, v13
	v_add_nc_u32_e32 v9, 0x3c000000, v9
	s_delay_alu instid0(VALU_DEP_1) | instskip(NEXT) | instid1(VALU_DEP_1)
	v_and_or_b32 v9, 0x7f800000, v11, v9
	v_cndmask_b32_e32 v3, 0, v9, vcc_lo
	s_delay_alu instid0(VALU_DEP_1) | instskip(NEXT) | instid1(VALU_DEP_1)
	v_and_or_b32 v1, 0x80000000, v1, v3
	v_cvt_f64_f32_e32 v[16:17], v1
.LBB7_1356:
	s_mov_b32 s13, 0
.LBB7_1357:
	s_delay_alu instid0(SALU_CYCLE_1)
	s_and_not1_b32 vcc_lo, exec_lo, s13
	s_cbranch_vccnz .LBB7_1359
; %bb.1358:
	global_load_u8 v1, v[4:5], off
	s_wait_loadcnt 0x0
	v_lshlrev_b32_e32 v3, 25, v1
	v_lshlrev_b16 v1, 8, v1
	s_delay_alu instid0(VALU_DEP_1) | instskip(SKIP_1) | instid1(VALU_DEP_2)
	v_and_or_b32 v11, 0x7f00, v1, 0.5
	v_bfe_i32 v1, v1, 0, 16
	v_add_f32_e32 v11, -0.5, v11
	v_lshrrev_b32_e32 v9, 4, v3
	v_cmp_gt_u32_e32 vcc_lo, 0x8000000, v3
	s_delay_alu instid0(VALU_DEP_2) | instskip(NEXT) | instid1(VALU_DEP_1)
	v_or_b32_e32 v9, 0x70000000, v9
	v_mul_f32_e32 v9, 0x7800000, v9
	s_delay_alu instid0(VALU_DEP_1) | instskip(NEXT) | instid1(VALU_DEP_1)
	v_cndmask_b32_e32 v3, v9, v11, vcc_lo
	v_and_or_b32 v1, 0x80000000, v1, v3
	s_delay_alu instid0(VALU_DEP_1)
	v_cvt_f64_f32_e32 v[16:17], v1
.LBB7_1359:
	s_mov_b32 s13, 0
	s_mov_b32 s14, -1
.LBB7_1360:
	s_and_not1_b32 vcc_lo, exec_lo, s13
	s_mov_b32 s13, 0
	s_cbranch_vccnz .LBB7_1371
; %bb.1361:
	s_cmp_gt_i32 s11, 14
	s_cbranch_scc0 .LBB7_1364
; %bb.1362:
	s_cmp_eq_u32 s11, 15
	s_cbranch_scc0 .LBB7_1367
; %bb.1363:
	global_load_u16 v1, v[4:5], off
	s_mov_b32 s12, 0
	s_mov_b32 s14, -1
	s_wait_loadcnt 0x0
	v_lshlrev_b32_e32 v1, 16, v1
	s_delay_alu instid0(VALU_DEP_1)
	v_cvt_f64_f32_e32 v[16:17], v1
	s_branch .LBB7_1369
.LBB7_1364:
	s_mov_b32 s13, -1
	s_branch .LBB7_1368
.LBB7_1365:
	s_or_saveexec_b32 s14, s14
	v_mov_b64_e32 v[16:17], 0x7ff8000020000000
	s_xor_b32 exec_lo, exec_lo, s14
	s_cbranch_execz .LBB7_1346
.LBB7_1366:
	v_cmp_ne_u16_e32 vcc_lo, 0, v1
	v_mov_b64_e32 v[16:17], 0
	s_and_not1_b32 s13, s13, exec_lo
	s_and_b32 s15, vcc_lo, exec_lo
	s_delay_alu instid0(SALU_CYCLE_1)
	s_or_b32 s13, s13, s15
	s_or_b32 exec_lo, exec_lo, s14
	s_and_saveexec_b32 s14, s13
	s_cbranch_execnz .LBB7_1347
	s_branch .LBB7_1348
.LBB7_1367:
	s_mov_b32 s12, -1
.LBB7_1368:
                                        ; implicit-def: $vgpr16_vgpr17
.LBB7_1369:
	s_and_b32 vcc_lo, exec_lo, s13
	s_mov_b32 s13, 0
	s_cbranch_vccz .LBB7_1371
; %bb.1370:
	s_cmp_lg_u32 s11, 11
	s_mov_b32 s13, -1
	s_cselect_b32 s12, -1, 0
.LBB7_1371:
	s_delay_alu instid0(SALU_CYCLE_1)
	s_and_b32 vcc_lo, exec_lo, s12
	s_cbranch_vccnz .LBB7_1436
; %bb.1372:
	s_and_not1_b32 vcc_lo, exec_lo, s13
	s_cbranch_vccnz .LBB7_1374
.LBB7_1373:
	global_load_u8 v1, v[4:5], off
	v_mov_b32_e32 v16, 0
	s_mov_b32 s14, -1
	s_wait_loadcnt 0x0
	v_cmp_ne_u16_e32 vcc_lo, 0, v1
	v_cndmask_b32_e64 v17, 0, 0x3ff00000, vcc_lo
.LBB7_1374:
	s_branch .LBB7_1300
.LBB7_1375:
	s_cmp_lt_i32 s11, 5
	s_cbranch_scc1 .LBB7_1380
; %bb.1376:
	s_cmp_lt_i32 s11, 8
	s_cbranch_scc1 .LBB7_1381
; %bb.1377:
	;; [unrolled: 3-line block ×3, first 2 shown]
	s_cmp_gt_i32 s11, 9
	s_cbranch_scc0 .LBB7_1383
; %bb.1379:
	global_load_b64 v[16:17], v[4:5], off
	s_mov_b32 s12, 0
	s_branch .LBB7_1384
.LBB7_1380:
                                        ; implicit-def: $vgpr16_vgpr17
	s_branch .LBB7_1402
.LBB7_1381:
	s_mov_b32 s12, -1
                                        ; implicit-def: $vgpr16_vgpr17
	s_branch .LBB7_1390
.LBB7_1382:
	s_mov_b32 s12, -1
                                        ; implicit-def: $vgpr16_vgpr17
	s_branch .LBB7_1387
.LBB7_1383:
	s_mov_b32 s12, -1
                                        ; implicit-def: $vgpr16_vgpr17
.LBB7_1384:
	s_delay_alu instid0(SALU_CYCLE_1)
	s_and_not1_b32 vcc_lo, exec_lo, s12
	s_cbranch_vccnz .LBB7_1386
; %bb.1385:
	global_load_b32 v1, v[4:5], off
	s_wait_loadcnt 0x0
	v_cvt_f64_f32_e32 v[16:17], v1
.LBB7_1386:
	s_mov_b32 s12, 0
.LBB7_1387:
	s_delay_alu instid0(SALU_CYCLE_1)
	s_and_not1_b32 vcc_lo, exec_lo, s12
	s_cbranch_vccnz .LBB7_1389
; %bb.1388:
	global_load_b32 v1, v[4:5], off
	s_wait_loadcnt 0x0
	v_cvt_f32_f16_e32 v1, v1
	s_delay_alu instid0(VALU_DEP_1)
	v_cvt_f64_f32_e32 v[16:17], v1
.LBB7_1389:
	s_mov_b32 s12, 0
.LBB7_1390:
	s_delay_alu instid0(SALU_CYCLE_1)
	s_and_not1_b32 vcc_lo, exec_lo, s12
	s_cbranch_vccnz .LBB7_1401
; %bb.1391:
	s_cmp_lt_i32 s11, 6
	s_cbranch_scc1 .LBB7_1394
; %bb.1392:
	s_cmp_gt_i32 s11, 6
	s_cbranch_scc0 .LBB7_1395
; %bb.1393:
	s_wait_loadcnt 0x0
	global_load_b64 v[16:17], v[4:5], off
	s_mov_b32 s12, 0
	s_branch .LBB7_1396
.LBB7_1394:
	s_mov_b32 s12, -1
                                        ; implicit-def: $vgpr16_vgpr17
	s_branch .LBB7_1399
.LBB7_1395:
	s_mov_b32 s12, -1
                                        ; implicit-def: $vgpr16_vgpr17
.LBB7_1396:
	s_delay_alu instid0(SALU_CYCLE_1)
	s_and_not1_b32 vcc_lo, exec_lo, s12
	s_cbranch_vccnz .LBB7_1398
; %bb.1397:
	global_load_b32 v1, v[4:5], off
	s_wait_loadcnt 0x0
	v_cvt_f64_f32_e32 v[16:17], v1
.LBB7_1398:
	s_mov_b32 s12, 0
.LBB7_1399:
	s_delay_alu instid0(SALU_CYCLE_1)
	s_and_not1_b32 vcc_lo, exec_lo, s12
	s_cbranch_vccnz .LBB7_1401
; %bb.1400:
	global_load_u16 v1, v[4:5], off
	s_wait_loadcnt 0x0
	v_cvt_f32_f16_e32 v1, v1
	s_delay_alu instid0(VALU_DEP_1)
	v_cvt_f64_f32_e32 v[16:17], v1
.LBB7_1401:
	s_cbranch_execnz .LBB7_1421
.LBB7_1402:
	s_cmp_lt_i32 s11, 2
	s_cbranch_scc1 .LBB7_1406
; %bb.1403:
	s_cmp_lt_i32 s11, 3
	s_cbranch_scc1 .LBB7_1407
; %bb.1404:
	s_cmp_gt_i32 s11, 3
	s_cbranch_scc0 .LBB7_1408
; %bb.1405:
	s_wait_loadcnt 0x0
	global_load_b64 v[16:17], v[4:5], off
	s_mov_b32 s12, 0
	s_wait_loadcnt 0x0
	v_cvt_f64_i32_e32 v[18:19], v17
	v_cvt_f64_u32_e32 v[16:17], v16
	s_delay_alu instid0(VALU_DEP_2) | instskip(NEXT) | instid1(VALU_DEP_1)
	v_ldexp_f64 v[18:19], v[18:19], 32
	v_add_f64_e32 v[16:17], v[18:19], v[16:17]
	s_branch .LBB7_1409
.LBB7_1406:
	s_mov_b32 s12, -1
                                        ; implicit-def: $vgpr16_vgpr17
	s_branch .LBB7_1415
.LBB7_1407:
	s_mov_b32 s12, -1
                                        ; implicit-def: $vgpr16_vgpr17
	s_branch .LBB7_1412
.LBB7_1408:
	s_mov_b32 s12, -1
                                        ; implicit-def: $vgpr16_vgpr17
.LBB7_1409:
	s_delay_alu instid0(SALU_CYCLE_1)
	s_and_not1_b32 vcc_lo, exec_lo, s12
	s_cbranch_vccnz .LBB7_1411
; %bb.1410:
	global_load_b32 v1, v[4:5], off
	s_wait_loadcnt 0x0
	v_cvt_f64_i32_e32 v[16:17], v1
.LBB7_1411:
	s_mov_b32 s12, 0
.LBB7_1412:
	s_delay_alu instid0(SALU_CYCLE_1)
	s_and_not1_b32 vcc_lo, exec_lo, s12
	s_cbranch_vccnz .LBB7_1414
; %bb.1413:
	global_load_i16 v1, v[4:5], off
	s_wait_loadcnt 0x0
	v_cvt_f64_i32_e32 v[16:17], v1
.LBB7_1414:
	s_mov_b32 s12, 0
.LBB7_1415:
	s_delay_alu instid0(SALU_CYCLE_1)
	s_and_not1_b32 vcc_lo, exec_lo, s12
	s_cbranch_vccnz .LBB7_1421
; %bb.1416:
	s_cmp_gt_i32 s11, 0
	s_mov_b32 s12, 0
	s_cbranch_scc0 .LBB7_1418
; %bb.1417:
	global_load_i8 v1, v[4:5], off
	s_wait_loadcnt 0x0
	v_cvt_f64_i32_e32 v[16:17], v1
	s_branch .LBB7_1419
.LBB7_1418:
	s_mov_b32 s12, -1
                                        ; implicit-def: $vgpr16_vgpr17
.LBB7_1419:
	s_delay_alu instid0(SALU_CYCLE_1)
	s_and_not1_b32 vcc_lo, exec_lo, s12
	s_cbranch_vccnz .LBB7_1421
; %bb.1420:
	global_load_u8 v1, v[4:5], off
	s_wait_loadcnt 0x0
	v_cvt_f64_u32_e32 v[16:17], v1
.LBB7_1421:
.LBB7_1422:
	s_wait_xcnt 0x0
	v_mov_b64_e32 v[4:5], 1.0
	s_mov_b32 s12, exec_lo
	s_wait_loadcnt 0x0
	s_delay_alu instid0(VALU_DEP_2)
	v_cmpx_lt_f64_e32 s[0:1], v[16:17]
	s_cbranch_execz .LBB7_1424
; %bb.1423:
	v_add_f64_e32 v[4:5], 0x3e7ad7f29abcaf48, v[16:17]
	s_delay_alu instid0(VALU_DEP_1) | instskip(NEXT) | instid1(VALU_DEP_1)
	v_div_scale_f64 v[16:17], null, v[4:5], v[4:5], s[0:1]
	v_rcp_f64_e32 v[18:19], v[16:17]
	v_nop
	s_delay_alu instid0(TRANS32_DEP_1) | instskip(NEXT) | instid1(VALU_DEP_1)
	v_fma_f64 v[20:21], -v[16:17], v[18:19], 1.0
	v_fmac_f64_e32 v[18:19], v[18:19], v[20:21]
	s_delay_alu instid0(VALU_DEP_1) | instskip(NEXT) | instid1(VALU_DEP_1)
	v_fma_f64 v[20:21], -v[16:17], v[18:19], 1.0
	v_fmac_f64_e32 v[18:19], v[18:19], v[20:21]
	v_div_scale_f64 v[20:21], vcc_lo, s[0:1], v[4:5], s[0:1]
	s_delay_alu instid0(VALU_DEP_1) | instskip(NEXT) | instid1(VALU_DEP_1)
	v_mul_f64_e32 v[22:23], v[20:21], v[18:19]
	v_fma_f64 v[16:17], -v[16:17], v[22:23], v[20:21]
	s_delay_alu instid0(VALU_DEP_1) | instskip(NEXT) | instid1(VALU_DEP_1)
	v_div_fmas_f64 v[16:17], v[16:17], v[18:19], v[22:23]
	v_div_fixup_f64 v[4:5], v[16:17], v[4:5], s[0:1]
.LBB7_1424:
	s_or_b32 exec_lo, exec_lo, s12
	v_mov_b32_e32 v3, 0
	s_cmp_lt_i32 s11, 11
	s_delay_alu instid0(VALU_DEP_1)
	v_add_nc_u64_e32 v[2:3], s[6:7], v[2:3]
	s_cbranch_scc1 .LBB7_1431
; %bb.1425:
	s_cmp_gt_i32 s11, 25
	s_mov_b32 s13, 0
	s_cbranch_scc0 .LBB7_1433
; %bb.1426:
	s_cmp_gt_i32 s11, 28
	s_cbranch_scc0 .LBB7_1434
; %bb.1427:
	s_cmp_gt_i32 s11, 43
	;; [unrolled: 3-line block ×3, first 2 shown]
	s_cbranch_scc0 .LBB7_1437
; %bb.1429:
	s_cmp_eq_u32 s11, 46
	s_mov_b32 s15, 0
	s_cbranch_scc0 .LBB7_1438
; %bb.1430:
	global_load_b32 v1, v[2:3], off
	s_mov_b32 s12, 0
	s_mov_b32 s14, -1
	s_wait_loadcnt 0x0
	v_lshlrev_b32_e32 v1, 16, v1
	s_delay_alu instid0(VALU_DEP_1)
	v_cvt_f64_f32_e32 v[16:17], v1
	s_branch .LBB7_1440
.LBB7_1431:
	s_mov_b32 s14, 0
                                        ; implicit-def: $vgpr16_vgpr17
	s_cbranch_execnz .LBB7_1506
.LBB7_1432:
	s_and_not1_b32 vcc_lo, exec_lo, s14
	s_cbranch_vccnz .LBB7_1767
	s_branch .LBB7_1554
.LBB7_1433:
	s_mov_b32 s15, -1
	s_mov_b32 s14, 0
	s_mov_b32 s12, 0
                                        ; implicit-def: $vgpr16_vgpr17
	s_branch .LBB7_1469
.LBB7_1434:
	s_mov_b32 s15, -1
	s_mov_b32 s14, 0
	s_mov_b32 s12, 0
                                        ; implicit-def: $vgpr16_vgpr17
	s_branch .LBB7_1450
.LBB7_1435:
	s_mov_b32 s15, -1
	s_mov_b32 s14, 0
	s_mov_b32 s12, 0
                                        ; implicit-def: $vgpr16_vgpr17
	s_branch .LBB7_1445
.LBB7_1436:
	s_or_b32 s10, s10, exec_lo
	s_trap 2
	s_cbranch_execz .LBB7_1373
	s_branch .LBB7_1374
.LBB7_1437:
	s_mov_b32 s15, -1
	s_mov_b32 s14, 0
	s_mov_b32 s12, 0
	s_branch .LBB7_1439
.LBB7_1438:
	s_mov_b32 s12, -1
	s_mov_b32 s14, 0
.LBB7_1439:
                                        ; implicit-def: $vgpr16_vgpr17
.LBB7_1440:
	s_and_b32 vcc_lo, exec_lo, s15
	s_cbranch_vccz .LBB7_1444
; %bb.1441:
	s_cmp_eq_u32 s11, 44
	s_cbranch_scc0 .LBB7_1443
; %bb.1442:
	global_load_u8 v1, v[2:3], off
	s_mov_b32 s12, 0
	s_mov_b32 s14, -1
	s_wait_loadcnt 0x0
	v_lshlrev_b32_e32 v9, 23, v1
	v_cmp_ne_u32_e32 vcc_lo, 0xff, v1
	s_delay_alu instid0(VALU_DEP_2) | instskip(NEXT) | instid1(VALU_DEP_1)
	v_cvt_f64_f32_e32 v[16:17], v9
	v_cndmask_b32_e32 v9, 0x20000000, v16, vcc_lo
	s_delay_alu instid0(VALU_DEP_2) | instskip(SKIP_1) | instid1(VALU_DEP_2)
	v_cndmask_b32_e32 v11, 0x7ff80000, v17, vcc_lo
	v_cmp_ne_u32_e32 vcc_lo, 0, v1
	v_cndmask_b32_e32 v17, 0x38000000, v11, vcc_lo
	s_delay_alu instid0(VALU_DEP_4)
	v_cndmask_b32_e32 v16, 0, v9, vcc_lo
	s_branch .LBB7_1444
.LBB7_1443:
	s_mov_b32 s12, -1
                                        ; implicit-def: $vgpr16_vgpr17
.LBB7_1444:
	s_mov_b32 s15, 0
.LBB7_1445:
	s_delay_alu instid0(SALU_CYCLE_1)
	s_and_b32 vcc_lo, exec_lo, s15
	s_cbranch_vccz .LBB7_1449
; %bb.1446:
	s_cmp_eq_u32 s11, 29
	s_cbranch_scc0 .LBB7_1448
; %bb.1447:
	global_load_b64 v[16:17], v[2:3], off
	s_mov_b32 s12, 0
	s_mov_b32 s14, -1
	s_mov_b32 s15, 0
	s_wait_loadcnt 0x0
	v_cvt_f64_u32_e32 v[18:19], v17
	v_cvt_f64_u32_e32 v[16:17], v16
	s_delay_alu instid0(VALU_DEP_2) | instskip(NEXT) | instid1(VALU_DEP_1)
	v_ldexp_f64 v[18:19], v[18:19], 32
	v_add_f64_e32 v[16:17], v[18:19], v[16:17]
	s_branch .LBB7_1450
.LBB7_1448:
	s_mov_b32 s12, -1
                                        ; implicit-def: $vgpr16_vgpr17
.LBB7_1449:
	s_mov_b32 s15, 0
.LBB7_1450:
	s_delay_alu instid0(SALU_CYCLE_1)
	s_and_b32 vcc_lo, exec_lo, s15
	s_cbranch_vccz .LBB7_1468
; %bb.1451:
	s_cmp_lt_i32 s11, 27
	s_cbranch_scc1 .LBB7_1454
; %bb.1452:
	s_cmp_gt_i32 s11, 27
	s_cbranch_scc0 .LBB7_1455
; %bb.1453:
	global_load_b32 v1, v[2:3], off
	s_mov_b32 s14, 0
	s_wait_loadcnt 0x0
	v_cvt_f64_u32_e32 v[16:17], v1
	s_branch .LBB7_1456
.LBB7_1454:
	s_mov_b32 s14, -1
                                        ; implicit-def: $vgpr16_vgpr17
	s_branch .LBB7_1459
.LBB7_1455:
	s_mov_b32 s14, -1
                                        ; implicit-def: $vgpr16_vgpr17
.LBB7_1456:
	s_delay_alu instid0(SALU_CYCLE_1)
	s_and_not1_b32 vcc_lo, exec_lo, s14
	s_cbranch_vccnz .LBB7_1458
; %bb.1457:
	global_load_u16 v1, v[2:3], off
	s_wait_loadcnt 0x0
	v_cvt_f64_u32_e32 v[16:17], v1
.LBB7_1458:
	s_mov_b32 s14, 0
.LBB7_1459:
	s_delay_alu instid0(SALU_CYCLE_1)
	s_and_not1_b32 vcc_lo, exec_lo, s14
	s_cbranch_vccnz .LBB7_1467
; %bb.1460:
	global_load_u8 v1, v[2:3], off
	s_mov_b32 s14, 0
	s_mov_b32 s15, exec_lo
	s_wait_loadcnt 0x0
	v_cmpx_lt_i16_e32 0x7f, v1
	s_xor_b32 s15, exec_lo, s15
	s_cbranch_execz .LBB7_1481
; %bb.1461:
	s_mov_b32 s14, -1
	s_mov_b32 s16, exec_lo
	v_cmpx_eq_u16_e32 0x80, v1
; %bb.1462:
	s_xor_b32 s14, exec_lo, -1
; %bb.1463:
	s_or_b32 exec_lo, exec_lo, s16
	s_delay_alu instid0(SALU_CYCLE_1)
	s_and_b32 s14, s14, exec_lo
	s_or_saveexec_b32 s15, s15
	v_mov_b64_e32 v[16:17], 0x7ff8000020000000
	s_xor_b32 exec_lo, exec_lo, s15
	s_cbranch_execnz .LBB7_1482
.LBB7_1464:
	s_or_b32 exec_lo, exec_lo, s15
	s_and_saveexec_b32 s15, s14
	s_cbranch_execz .LBB7_1466
.LBB7_1465:
	v_and_b32_e32 v9, 0xffff, v1
	v_lshlrev_b32_e32 v1, 24, v1
	s_delay_alu instid0(VALU_DEP_2) | instskip(SKIP_1) | instid1(VALU_DEP_3)
	v_and_b32_e32 v11, 7, v9
	v_bfe_u32 v16, v9, 3, 4
	v_and_b32_e32 v1, 0x80000000, v1
	s_delay_alu instid0(VALU_DEP_3) | instskip(NEXT) | instid1(VALU_DEP_3)
	v_clz_i32_u32_e32 v13, v11
	v_cmp_eq_u32_e32 vcc_lo, 0, v16
	s_delay_alu instid0(VALU_DEP_2) | instskip(NEXT) | instid1(VALU_DEP_1)
	v_min_u32_e32 v13, 32, v13
	v_subrev_nc_u32_e32 v15, 28, v13
	v_sub_nc_u32_e32 v13, 29, v13
	s_delay_alu instid0(VALU_DEP_2) | instskip(NEXT) | instid1(VALU_DEP_2)
	v_lshlrev_b32_e32 v9, v15, v9
	v_cndmask_b32_e32 v13, v16, v13, vcc_lo
	s_delay_alu instid0(VALU_DEP_2) | instskip(NEXT) | instid1(VALU_DEP_1)
	v_and_b32_e32 v9, 7, v9
	v_cndmask_b32_e32 v9, v11, v9, vcc_lo
	s_delay_alu instid0(VALU_DEP_3) | instskip(NEXT) | instid1(VALU_DEP_2)
	v_lshl_add_u32 v11, v13, 23, 0x3b800000
	v_lshlrev_b32_e32 v9, 20, v9
	s_delay_alu instid0(VALU_DEP_1) | instskip(NEXT) | instid1(VALU_DEP_1)
	v_or3_b32 v1, v1, v11, v9
	v_cvt_f64_f32_e32 v[16:17], v1
.LBB7_1466:
	s_or_b32 exec_lo, exec_lo, s15
.LBB7_1467:
	s_mov_b32 s14, -1
.LBB7_1468:
	s_mov_b32 s15, 0
.LBB7_1469:
	s_delay_alu instid0(SALU_CYCLE_1)
	s_and_b32 vcc_lo, exec_lo, s15
	s_cbranch_vccz .LBB7_1502
; %bb.1470:
	s_cmp_gt_i32 s11, 22
	s_cbranch_scc0 .LBB7_1480
; %bb.1471:
	s_cmp_lt_i32 s11, 24
	s_cbranch_scc1 .LBB7_1483
; %bb.1472:
	s_cmp_gt_i32 s11, 24
	s_cbranch_scc0 .LBB7_1484
; %bb.1473:
	global_load_u8 v1, v[2:3], off
	s_mov_b32 s14, exec_lo
	s_wait_loadcnt 0x0
	v_cmpx_lt_i16_e32 0x7f, v1
	s_xor_b32 s14, exec_lo, s14
	s_cbranch_execz .LBB7_1496
; %bb.1474:
	s_mov_b32 s13, -1
	s_mov_b32 s15, exec_lo
	v_cmpx_eq_u16_e32 0x80, v1
; %bb.1475:
	s_xor_b32 s13, exec_lo, -1
; %bb.1476:
	s_or_b32 exec_lo, exec_lo, s15
	s_delay_alu instid0(SALU_CYCLE_1)
	s_and_b32 s13, s13, exec_lo
	s_or_saveexec_b32 s14, s14
	v_mov_b64_e32 v[16:17], 0x7ff8000020000000
	s_xor_b32 exec_lo, exec_lo, s14
	s_cbranch_execnz .LBB7_1497
.LBB7_1477:
	s_or_b32 exec_lo, exec_lo, s14
	s_and_saveexec_b32 s14, s13
	s_cbranch_execz .LBB7_1479
.LBB7_1478:
	v_and_b32_e32 v9, 0xffff, v1
	v_lshlrev_b32_e32 v1, 24, v1
	s_delay_alu instid0(VALU_DEP_2) | instskip(SKIP_1) | instid1(VALU_DEP_3)
	v_and_b32_e32 v11, 3, v9
	v_bfe_u32 v16, v9, 2, 5
	v_and_b32_e32 v1, 0x80000000, v1
	s_delay_alu instid0(VALU_DEP_3) | instskip(NEXT) | instid1(VALU_DEP_3)
	v_clz_i32_u32_e32 v13, v11
	v_cmp_eq_u32_e32 vcc_lo, 0, v16
	s_delay_alu instid0(VALU_DEP_2) | instskip(NEXT) | instid1(VALU_DEP_1)
	v_min_u32_e32 v13, 32, v13
	v_subrev_nc_u32_e32 v15, 29, v13
	v_sub_nc_u32_e32 v13, 30, v13
	s_delay_alu instid0(VALU_DEP_2) | instskip(NEXT) | instid1(VALU_DEP_2)
	v_lshlrev_b32_e32 v9, v15, v9
	v_cndmask_b32_e32 v13, v16, v13, vcc_lo
	s_delay_alu instid0(VALU_DEP_2) | instskip(NEXT) | instid1(VALU_DEP_1)
	v_and_b32_e32 v9, 3, v9
	v_cndmask_b32_e32 v9, v11, v9, vcc_lo
	s_delay_alu instid0(VALU_DEP_3) | instskip(NEXT) | instid1(VALU_DEP_2)
	v_lshl_add_u32 v11, v13, 23, 0x37800000
	v_lshlrev_b32_e32 v9, 21, v9
	s_delay_alu instid0(VALU_DEP_1) | instskip(NEXT) | instid1(VALU_DEP_1)
	v_or3_b32 v1, v1, v11, v9
	v_cvt_f64_f32_e32 v[16:17], v1
.LBB7_1479:
	s_or_b32 exec_lo, exec_lo, s14
	s_mov_b32 s13, 0
	s_branch .LBB7_1485
.LBB7_1480:
	s_mov_b32 s13, -1
                                        ; implicit-def: $vgpr16_vgpr17
	s_branch .LBB7_1491
.LBB7_1481:
	s_or_saveexec_b32 s15, s15
	v_mov_b64_e32 v[16:17], 0x7ff8000020000000
	s_xor_b32 exec_lo, exec_lo, s15
	s_cbranch_execz .LBB7_1464
.LBB7_1482:
	v_cmp_ne_u16_e32 vcc_lo, 0, v1
	v_mov_b64_e32 v[16:17], 0
	s_and_not1_b32 s14, s14, exec_lo
	s_and_b32 s16, vcc_lo, exec_lo
	s_delay_alu instid0(SALU_CYCLE_1)
	s_or_b32 s14, s14, s16
	s_or_b32 exec_lo, exec_lo, s15
	s_and_saveexec_b32 s15, s14
	s_cbranch_execnz .LBB7_1465
	s_branch .LBB7_1466
.LBB7_1483:
	s_mov_b32 s13, -1
                                        ; implicit-def: $vgpr16_vgpr17
	s_branch .LBB7_1488
.LBB7_1484:
	s_mov_b32 s13, -1
                                        ; implicit-def: $vgpr16_vgpr17
.LBB7_1485:
	s_delay_alu instid0(SALU_CYCLE_1)
	s_and_b32 vcc_lo, exec_lo, s13
	s_cbranch_vccz .LBB7_1487
; %bb.1486:
	global_load_u8 v1, v[2:3], off
	s_wait_loadcnt 0x0
	v_lshlrev_b32_e32 v1, 24, v1
	s_delay_alu instid0(VALU_DEP_1) | instskip(NEXT) | instid1(VALU_DEP_1)
	v_and_b32_e32 v9, 0x7f000000, v1
	v_clz_i32_u32_e32 v11, v9
	v_cmp_ne_u32_e32 vcc_lo, 0, v9
	v_add_nc_u32_e32 v15, 0x1000000, v9
	s_delay_alu instid0(VALU_DEP_3) | instskip(NEXT) | instid1(VALU_DEP_1)
	v_min_u32_e32 v11, 32, v11
	v_sub_nc_u32_e64 v11, v11, 4 clamp
	s_delay_alu instid0(VALU_DEP_1) | instskip(NEXT) | instid1(VALU_DEP_1)
	v_dual_lshlrev_b32 v13, v11, v9 :: v_dual_lshlrev_b32 v11, 23, v11
	v_lshrrev_b32_e32 v13, 4, v13
	s_delay_alu instid0(VALU_DEP_1) | instskip(SKIP_1) | instid1(VALU_DEP_2)
	v_sub_nc_u32_e32 v11, v13, v11
	v_ashrrev_i32_e32 v13, 8, v15
	v_add_nc_u32_e32 v11, 0x3c000000, v11
	s_delay_alu instid0(VALU_DEP_1) | instskip(NEXT) | instid1(VALU_DEP_1)
	v_and_or_b32 v11, 0x7f800000, v13, v11
	v_cndmask_b32_e32 v9, 0, v11, vcc_lo
	s_delay_alu instid0(VALU_DEP_1) | instskip(NEXT) | instid1(VALU_DEP_1)
	v_and_or_b32 v1, 0x80000000, v1, v9
	v_cvt_f64_f32_e32 v[16:17], v1
.LBB7_1487:
	s_mov_b32 s13, 0
.LBB7_1488:
	s_delay_alu instid0(SALU_CYCLE_1)
	s_and_not1_b32 vcc_lo, exec_lo, s13
	s_cbranch_vccnz .LBB7_1490
; %bb.1489:
	global_load_u8 v1, v[2:3], off
	s_wait_loadcnt 0x0
	v_lshlrev_b32_e32 v9, 25, v1
	v_lshlrev_b16 v1, 8, v1
	s_delay_alu instid0(VALU_DEP_2) | instskip(NEXT) | instid1(VALU_DEP_2)
	v_lshrrev_b32_e32 v11, 4, v9
	v_and_or_b32 v13, 0x7f00, v1, 0.5
	v_cmp_gt_u32_e32 vcc_lo, 0x8000000, v9
	v_bfe_i32 v1, v1, 0, 16
	s_delay_alu instid0(VALU_DEP_4) | instskip(NEXT) | instid1(VALU_DEP_4)
	v_or_b32_e32 v11, 0x70000000, v11
	v_add_f32_e32 v13, -0.5, v13
	s_delay_alu instid0(VALU_DEP_2) | instskip(NEXT) | instid1(VALU_DEP_1)
	v_mul_f32_e32 v11, 0x7800000, v11
	v_cndmask_b32_e32 v9, v11, v13, vcc_lo
	s_delay_alu instid0(VALU_DEP_1) | instskip(NEXT) | instid1(VALU_DEP_1)
	v_and_or_b32 v1, 0x80000000, v1, v9
	v_cvt_f64_f32_e32 v[16:17], v1
.LBB7_1490:
	s_mov_b32 s13, 0
	s_mov_b32 s14, -1
.LBB7_1491:
	s_and_not1_b32 vcc_lo, exec_lo, s13
	s_mov_b32 s13, 0
	s_cbranch_vccnz .LBB7_1502
; %bb.1492:
	s_cmp_gt_i32 s11, 14
	s_cbranch_scc0 .LBB7_1495
; %bb.1493:
	s_cmp_eq_u32 s11, 15
	s_cbranch_scc0 .LBB7_1498
; %bb.1494:
	global_load_u16 v1, v[2:3], off
	s_mov_b32 s12, 0
	s_mov_b32 s14, -1
	s_wait_loadcnt 0x0
	v_lshlrev_b32_e32 v1, 16, v1
	s_delay_alu instid0(VALU_DEP_1)
	v_cvt_f64_f32_e32 v[16:17], v1
	s_branch .LBB7_1500
.LBB7_1495:
	s_mov_b32 s13, -1
	s_branch .LBB7_1499
.LBB7_1496:
	s_or_saveexec_b32 s14, s14
	v_mov_b64_e32 v[16:17], 0x7ff8000020000000
	s_xor_b32 exec_lo, exec_lo, s14
	s_cbranch_execz .LBB7_1477
.LBB7_1497:
	v_cmp_ne_u16_e32 vcc_lo, 0, v1
	v_mov_b64_e32 v[16:17], 0
	s_and_not1_b32 s13, s13, exec_lo
	s_and_b32 s15, vcc_lo, exec_lo
	s_delay_alu instid0(SALU_CYCLE_1)
	s_or_b32 s13, s13, s15
	s_or_b32 exec_lo, exec_lo, s14
	s_and_saveexec_b32 s14, s13
	s_cbranch_execnz .LBB7_1478
	s_branch .LBB7_1479
.LBB7_1498:
	s_mov_b32 s12, -1
.LBB7_1499:
                                        ; implicit-def: $vgpr16_vgpr17
.LBB7_1500:
	s_and_b32 vcc_lo, exec_lo, s13
	s_mov_b32 s13, 0
	s_cbranch_vccz .LBB7_1502
; %bb.1501:
	s_cmp_lg_u32 s11, 11
	s_mov_b32 s13, -1
	s_cselect_b32 s12, -1, 0
.LBB7_1502:
	s_delay_alu instid0(SALU_CYCLE_1)
	s_and_b32 vcc_lo, exec_lo, s12
	s_cbranch_vccnz .LBB7_1567
; %bb.1503:
	s_and_not1_b32 vcc_lo, exec_lo, s13
	s_cbranch_vccnz .LBB7_1505
.LBB7_1504:
	global_load_u8 v1, v[2:3], off
	v_mov_b32_e32 v16, 0
	s_mov_b32 s14, -1
	s_wait_loadcnt 0x0
	v_cmp_ne_u16_e32 vcc_lo, 0, v1
	v_cndmask_b32_e64 v17, 0, 0x3ff00000, vcc_lo
.LBB7_1505:
	s_branch .LBB7_1432
.LBB7_1506:
	s_cmp_lt_i32 s11, 5
	s_cbranch_scc1 .LBB7_1511
; %bb.1507:
	s_cmp_lt_i32 s11, 8
	s_cbranch_scc1 .LBB7_1512
; %bb.1508:
	;; [unrolled: 3-line block ×3, first 2 shown]
	s_cmp_gt_i32 s11, 9
	s_cbranch_scc0 .LBB7_1514
; %bb.1510:
	global_load_b64 v[16:17], v[2:3], off
	s_mov_b32 s12, 0
	s_branch .LBB7_1515
.LBB7_1511:
	s_mov_b32 s12, -1
                                        ; implicit-def: $vgpr16_vgpr17
	s_branch .LBB7_1533
.LBB7_1512:
	s_mov_b32 s12, -1
                                        ; implicit-def: $vgpr16_vgpr17
	s_branch .LBB7_1521
.LBB7_1513:
	s_mov_b32 s12, -1
                                        ; implicit-def: $vgpr16_vgpr17
	s_branch .LBB7_1518
.LBB7_1514:
	s_mov_b32 s12, -1
                                        ; implicit-def: $vgpr16_vgpr17
.LBB7_1515:
	s_delay_alu instid0(SALU_CYCLE_1)
	s_and_not1_b32 vcc_lo, exec_lo, s12
	s_cbranch_vccnz .LBB7_1517
; %bb.1516:
	global_load_b32 v1, v[2:3], off
	s_wait_loadcnt 0x0
	v_cvt_f64_f32_e32 v[16:17], v1
.LBB7_1517:
	s_mov_b32 s12, 0
.LBB7_1518:
	s_delay_alu instid0(SALU_CYCLE_1)
	s_and_not1_b32 vcc_lo, exec_lo, s12
	s_cbranch_vccnz .LBB7_1520
; %bb.1519:
	global_load_b32 v1, v[2:3], off
	s_wait_loadcnt 0x0
	v_cvt_f32_f16_e32 v1, v1
	s_delay_alu instid0(VALU_DEP_1)
	v_cvt_f64_f32_e32 v[16:17], v1
.LBB7_1520:
	s_mov_b32 s12, 0
.LBB7_1521:
	s_delay_alu instid0(SALU_CYCLE_1)
	s_and_not1_b32 vcc_lo, exec_lo, s12
	s_cbranch_vccnz .LBB7_1532
; %bb.1522:
	s_cmp_lt_i32 s11, 6
	s_cbranch_scc1 .LBB7_1525
; %bb.1523:
	s_cmp_gt_i32 s11, 6
	s_cbranch_scc0 .LBB7_1526
; %bb.1524:
	s_wait_loadcnt 0x0
	global_load_b64 v[16:17], v[2:3], off
	s_mov_b32 s12, 0
	s_branch .LBB7_1527
.LBB7_1525:
	s_mov_b32 s12, -1
                                        ; implicit-def: $vgpr16_vgpr17
	s_branch .LBB7_1530
.LBB7_1526:
	s_mov_b32 s12, -1
                                        ; implicit-def: $vgpr16_vgpr17
.LBB7_1527:
	s_delay_alu instid0(SALU_CYCLE_1)
	s_and_not1_b32 vcc_lo, exec_lo, s12
	s_cbranch_vccnz .LBB7_1529
; %bb.1528:
	global_load_b32 v1, v[2:3], off
	s_wait_loadcnt 0x0
	v_cvt_f64_f32_e32 v[16:17], v1
.LBB7_1529:
	s_mov_b32 s12, 0
.LBB7_1530:
	s_delay_alu instid0(SALU_CYCLE_1)
	s_and_not1_b32 vcc_lo, exec_lo, s12
	s_cbranch_vccnz .LBB7_1532
; %bb.1531:
	global_load_u16 v1, v[2:3], off
	s_wait_loadcnt 0x0
	v_cvt_f32_f16_e32 v1, v1
	s_delay_alu instid0(VALU_DEP_1)
	v_cvt_f64_f32_e32 v[16:17], v1
.LBB7_1532:
	s_mov_b32 s12, 0
.LBB7_1533:
	s_delay_alu instid0(SALU_CYCLE_1)
	s_and_not1_b32 vcc_lo, exec_lo, s12
	s_cbranch_vccnz .LBB7_1553
; %bb.1534:
	s_cmp_lt_i32 s11, 2
	s_cbranch_scc1 .LBB7_1538
; %bb.1535:
	s_cmp_lt_i32 s11, 3
	s_cbranch_scc1 .LBB7_1539
; %bb.1536:
	s_cmp_gt_i32 s11, 3
	s_cbranch_scc0 .LBB7_1540
; %bb.1537:
	s_wait_loadcnt 0x0
	global_load_b64 v[16:17], v[2:3], off
	s_mov_b32 s12, 0
	s_wait_loadcnt 0x0
	v_cvt_f64_i32_e32 v[18:19], v17
	v_cvt_f64_u32_e32 v[16:17], v16
	s_delay_alu instid0(VALU_DEP_2) | instskip(NEXT) | instid1(VALU_DEP_1)
	v_ldexp_f64 v[18:19], v[18:19], 32
	v_add_f64_e32 v[16:17], v[18:19], v[16:17]
	s_branch .LBB7_1541
.LBB7_1538:
	s_mov_b32 s12, -1
                                        ; implicit-def: $vgpr16_vgpr17
	s_branch .LBB7_1547
.LBB7_1539:
	s_mov_b32 s12, -1
                                        ; implicit-def: $vgpr16_vgpr17
	s_branch .LBB7_1544
.LBB7_1540:
	s_mov_b32 s12, -1
                                        ; implicit-def: $vgpr16_vgpr17
.LBB7_1541:
	s_delay_alu instid0(SALU_CYCLE_1)
	s_and_not1_b32 vcc_lo, exec_lo, s12
	s_cbranch_vccnz .LBB7_1543
; %bb.1542:
	global_load_b32 v1, v[2:3], off
	s_wait_loadcnt 0x0
	v_cvt_f64_i32_e32 v[16:17], v1
.LBB7_1543:
	s_mov_b32 s12, 0
.LBB7_1544:
	s_delay_alu instid0(SALU_CYCLE_1)
	s_and_not1_b32 vcc_lo, exec_lo, s12
	s_cbranch_vccnz .LBB7_1546
; %bb.1545:
	global_load_i16 v1, v[2:3], off
	s_wait_loadcnt 0x0
	v_cvt_f64_i32_e32 v[16:17], v1
.LBB7_1546:
	s_mov_b32 s12, 0
.LBB7_1547:
	s_delay_alu instid0(SALU_CYCLE_1)
	s_and_not1_b32 vcc_lo, exec_lo, s12
	s_cbranch_vccnz .LBB7_1553
; %bb.1548:
	s_cmp_gt_i32 s11, 0
	s_mov_b32 s12, 0
	s_cbranch_scc0 .LBB7_1550
; %bb.1549:
	global_load_i8 v1, v[2:3], off
	s_wait_loadcnt 0x0
	v_cvt_f64_i32_e32 v[16:17], v1
	s_branch .LBB7_1551
.LBB7_1550:
	s_mov_b32 s12, -1
                                        ; implicit-def: $vgpr16_vgpr17
.LBB7_1551:
	s_delay_alu instid0(SALU_CYCLE_1)
	s_and_not1_b32 vcc_lo, exec_lo, s12
	s_cbranch_vccnz .LBB7_1553
; %bb.1552:
	global_load_u8 v1, v[2:3], off
	s_wait_loadcnt 0x0
	v_cvt_f64_u32_e32 v[16:17], v1
.LBB7_1553:
.LBB7_1554:
	s_wait_xcnt 0x0
	v_mov_b64_e32 v[2:3], 1.0
	s_mov_b32 s12, exec_lo
	s_wait_loadcnt 0x0
	s_delay_alu instid0(VALU_DEP_2)
	v_cmpx_lt_f64_e32 s[0:1], v[16:17]
	s_cbranch_execz .LBB7_1556
; %bb.1555:
	v_add_f64_e32 v[2:3], 0x3e7ad7f29abcaf48, v[16:17]
	s_delay_alu instid0(VALU_DEP_1) | instskip(NEXT) | instid1(VALU_DEP_1)
	v_div_scale_f64 v[16:17], null, v[2:3], v[2:3], s[0:1]
	v_rcp_f64_e32 v[18:19], v[16:17]
	v_nop
	s_delay_alu instid0(TRANS32_DEP_1) | instskip(NEXT) | instid1(VALU_DEP_1)
	v_fma_f64 v[20:21], -v[16:17], v[18:19], 1.0
	v_fmac_f64_e32 v[18:19], v[18:19], v[20:21]
	s_delay_alu instid0(VALU_DEP_1) | instskip(NEXT) | instid1(VALU_DEP_1)
	v_fma_f64 v[20:21], -v[16:17], v[18:19], 1.0
	v_fmac_f64_e32 v[18:19], v[18:19], v[20:21]
	v_div_scale_f64 v[20:21], vcc_lo, s[0:1], v[2:3], s[0:1]
	s_delay_alu instid0(VALU_DEP_1) | instskip(NEXT) | instid1(VALU_DEP_1)
	v_mul_f64_e32 v[22:23], v[20:21], v[18:19]
	v_fma_f64 v[16:17], -v[16:17], v[22:23], v[20:21]
	s_delay_alu instid0(VALU_DEP_1) | instskip(NEXT) | instid1(VALU_DEP_1)
	v_div_fmas_f64 v[16:17], v[16:17], v[18:19], v[22:23]
	v_div_fixup_f64 v[2:3], v[16:17], v[2:3], s[0:1]
.LBB7_1556:
	s_or_b32 exec_lo, exec_lo, s12
	v_mov_b32_e32 v1, 0
	s_cmp_lt_i32 s11, 11
	s_delay_alu instid0(VALU_DEP_1)
	v_add_nc_u64_e32 v[0:1], s[6:7], v[0:1]
	s_cbranch_scc1 .LBB7_1563
; %bb.1557:
	s_cmp_gt_i32 s11, 25
	s_mov_b32 s7, 0
	s_cbranch_scc0 .LBB7_1564
; %bb.1558:
	s_cmp_gt_i32 s11, 28
	s_cbranch_scc0 .LBB7_1565
; %bb.1559:
	s_cmp_gt_i32 s11, 43
	;; [unrolled: 3-line block ×3, first 2 shown]
	s_cbranch_scc0 .LBB7_1568
; %bb.1561:
	s_cmp_eq_u32 s11, 46
	s_mov_b32 s13, 0
	s_cbranch_scc0 .LBB7_1569
; %bb.1562:
	global_load_b32 v9, v[0:1], off
	s_mov_b32 s6, 0
	s_mov_b32 s12, -1
	s_wait_loadcnt 0x0
	v_lshlrev_b32_e32 v9, 16, v9
	s_delay_alu instid0(VALU_DEP_1)
	v_cvt_f64_f32_e32 v[16:17], v9
	s_branch .LBB7_1571
.LBB7_1563:
	s_mov_b32 s6, -1
	s_mov_b32 s12, 0
                                        ; implicit-def: $vgpr16_vgpr17
	s_branch .LBB7_1637
.LBB7_1564:
	s_mov_b32 s13, -1
	s_mov_b32 s12, 0
	s_mov_b32 s6, 0
                                        ; implicit-def: $vgpr16_vgpr17
	s_branch .LBB7_1600
.LBB7_1565:
	s_mov_b32 s13, -1
	s_mov_b32 s12, 0
	s_mov_b32 s6, 0
                                        ; implicit-def: $vgpr16_vgpr17
	s_branch .LBB7_1581
.LBB7_1566:
	s_mov_b32 s13, -1
	s_mov_b32 s12, 0
	s_mov_b32 s6, 0
                                        ; implicit-def: $vgpr16_vgpr17
	s_branch .LBB7_1576
.LBB7_1567:
	s_or_b32 s10, s10, exec_lo
	s_trap 2
	s_cbranch_execz .LBB7_1504
	s_branch .LBB7_1505
.LBB7_1568:
	s_mov_b32 s13, -1
	s_mov_b32 s12, 0
	s_mov_b32 s6, 0
	s_branch .LBB7_1570
.LBB7_1569:
	s_mov_b32 s6, -1
	s_mov_b32 s12, 0
.LBB7_1570:
                                        ; implicit-def: $vgpr16_vgpr17
.LBB7_1571:
	s_and_b32 vcc_lo, exec_lo, s13
	s_cbranch_vccz .LBB7_1575
; %bb.1572:
	s_cmp_eq_u32 s11, 44
	s_cbranch_scc0 .LBB7_1574
; %bb.1573:
	global_load_u8 v9, v[0:1], off
	s_mov_b32 s6, 0
	s_mov_b32 s12, -1
	s_wait_loadcnt 0x0
	v_lshlrev_b32_e32 v11, 23, v9
	v_cmp_ne_u32_e32 vcc_lo, 0xff, v9
	s_delay_alu instid0(VALU_DEP_2) | instskip(NEXT) | instid1(VALU_DEP_1)
	v_cvt_f64_f32_e32 v[16:17], v11
	v_cndmask_b32_e32 v11, 0x20000000, v16, vcc_lo
	s_delay_alu instid0(VALU_DEP_2) | instskip(SKIP_1) | instid1(VALU_DEP_2)
	v_cndmask_b32_e32 v13, 0x7ff80000, v17, vcc_lo
	v_cmp_ne_u32_e32 vcc_lo, 0, v9
	v_cndmask_b32_e32 v17, 0x38000000, v13, vcc_lo
	s_delay_alu instid0(VALU_DEP_4)
	v_cndmask_b32_e32 v16, 0, v11, vcc_lo
	s_branch .LBB7_1575
.LBB7_1574:
	s_mov_b32 s6, -1
                                        ; implicit-def: $vgpr16_vgpr17
.LBB7_1575:
	s_mov_b32 s13, 0
.LBB7_1576:
	s_delay_alu instid0(SALU_CYCLE_1)
	s_and_b32 vcc_lo, exec_lo, s13
	s_cbranch_vccz .LBB7_1580
; %bb.1577:
	s_cmp_eq_u32 s11, 29
	s_cbranch_scc0 .LBB7_1579
; %bb.1578:
	global_load_b64 v[16:17], v[0:1], off
	s_mov_b32 s6, 0
	s_mov_b32 s12, -1
	s_mov_b32 s13, 0
	s_wait_loadcnt 0x0
	v_cvt_f64_u32_e32 v[18:19], v17
	v_cvt_f64_u32_e32 v[16:17], v16
	s_delay_alu instid0(VALU_DEP_2) | instskip(NEXT) | instid1(VALU_DEP_1)
	v_ldexp_f64 v[18:19], v[18:19], 32
	v_add_f64_e32 v[16:17], v[18:19], v[16:17]
	s_branch .LBB7_1581
.LBB7_1579:
	s_mov_b32 s6, -1
                                        ; implicit-def: $vgpr16_vgpr17
.LBB7_1580:
	s_mov_b32 s13, 0
.LBB7_1581:
	s_delay_alu instid0(SALU_CYCLE_1)
	s_and_b32 vcc_lo, exec_lo, s13
	s_cbranch_vccz .LBB7_1599
; %bb.1582:
	s_cmp_lt_i32 s11, 27
	s_cbranch_scc1 .LBB7_1585
; %bb.1583:
	s_cmp_gt_i32 s11, 27
	s_cbranch_scc0 .LBB7_1586
; %bb.1584:
	global_load_b32 v9, v[0:1], off
	s_mov_b32 s12, 0
	s_wait_loadcnt 0x0
	v_cvt_f64_u32_e32 v[16:17], v9
	s_branch .LBB7_1587
.LBB7_1585:
	s_mov_b32 s12, -1
                                        ; implicit-def: $vgpr16_vgpr17
	s_branch .LBB7_1590
.LBB7_1586:
	s_mov_b32 s12, -1
                                        ; implicit-def: $vgpr16_vgpr17
.LBB7_1587:
	s_delay_alu instid0(SALU_CYCLE_1)
	s_and_not1_b32 vcc_lo, exec_lo, s12
	s_cbranch_vccnz .LBB7_1589
; %bb.1588:
	global_load_u16 v9, v[0:1], off
	s_wait_loadcnt 0x0
	v_cvt_f64_u32_e32 v[16:17], v9
.LBB7_1589:
	s_mov_b32 s12, 0
.LBB7_1590:
	s_delay_alu instid0(SALU_CYCLE_1)
	s_and_not1_b32 vcc_lo, exec_lo, s12
	s_cbranch_vccnz .LBB7_1598
; %bb.1591:
	global_load_u8 v9, v[0:1], off
	s_mov_b32 s12, 0
	s_mov_b32 s13, exec_lo
	s_wait_loadcnt 0x0
	v_cmpx_lt_i16_e32 0x7f, v9
	s_xor_b32 s13, exec_lo, s13
	s_cbranch_execz .LBB7_1612
; %bb.1592:
	s_mov_b32 s12, -1
	s_mov_b32 s14, exec_lo
	v_cmpx_eq_u16_e32 0x80, v9
; %bb.1593:
	s_xor_b32 s12, exec_lo, -1
; %bb.1594:
	s_or_b32 exec_lo, exec_lo, s14
	s_delay_alu instid0(SALU_CYCLE_1)
	s_and_b32 s12, s12, exec_lo
	s_or_saveexec_b32 s13, s13
	v_mov_b64_e32 v[16:17], 0x7ff8000020000000
	s_xor_b32 exec_lo, exec_lo, s13
	s_cbranch_execnz .LBB7_1613
.LBB7_1595:
	s_or_b32 exec_lo, exec_lo, s13
	s_and_saveexec_b32 s13, s12
	s_cbranch_execz .LBB7_1597
.LBB7_1596:
	v_and_b32_e32 v11, 0xffff, v9
	s_delay_alu instid0(VALU_DEP_1) | instskip(SKIP_1) | instid1(VALU_DEP_2)
	v_dual_lshlrev_b32 v9, 24, v9 :: v_dual_bitop2_b32 v13, 7, v11 bitop3:0x40
	v_bfe_u32 v17, v11, 3, 4
	v_and_b32_e32 v9, 0x80000000, v9
	s_delay_alu instid0(VALU_DEP_3) | instskip(NEXT) | instid1(VALU_DEP_3)
	v_clz_i32_u32_e32 v15, v13
	v_cmp_eq_u32_e32 vcc_lo, 0, v17
	s_delay_alu instid0(VALU_DEP_2) | instskip(NEXT) | instid1(VALU_DEP_1)
	v_min_u32_e32 v15, 32, v15
	v_subrev_nc_u32_e32 v16, 28, v15
	v_sub_nc_u32_e32 v15, 29, v15
	s_delay_alu instid0(VALU_DEP_2) | instskip(NEXT) | instid1(VALU_DEP_2)
	v_lshlrev_b32_e32 v11, v16, v11
	v_cndmask_b32_e32 v15, v17, v15, vcc_lo
	s_delay_alu instid0(VALU_DEP_2) | instskip(NEXT) | instid1(VALU_DEP_1)
	v_and_b32_e32 v11, 7, v11
	v_cndmask_b32_e32 v11, v13, v11, vcc_lo
	s_delay_alu instid0(VALU_DEP_3) | instskip(NEXT) | instid1(VALU_DEP_2)
	v_lshl_add_u32 v13, v15, 23, 0x3b800000
	v_lshlrev_b32_e32 v11, 20, v11
	s_delay_alu instid0(VALU_DEP_1) | instskip(NEXT) | instid1(VALU_DEP_1)
	v_or3_b32 v9, v9, v13, v11
	v_cvt_f64_f32_e32 v[16:17], v9
.LBB7_1597:
	s_or_b32 exec_lo, exec_lo, s13
.LBB7_1598:
	s_mov_b32 s12, -1
.LBB7_1599:
	s_mov_b32 s13, 0
.LBB7_1600:
	s_delay_alu instid0(SALU_CYCLE_1)
	s_and_b32 vcc_lo, exec_lo, s13
	s_cbranch_vccz .LBB7_1633
; %bb.1601:
	s_cmp_gt_i32 s11, 22
	s_cbranch_scc0 .LBB7_1611
; %bb.1602:
	s_cmp_lt_i32 s11, 24
	s_cbranch_scc1 .LBB7_1614
; %bb.1603:
	s_cmp_gt_i32 s11, 24
	s_cbranch_scc0 .LBB7_1615
; %bb.1604:
	global_load_u8 v9, v[0:1], off
	s_mov_b32 s12, exec_lo
	s_wait_loadcnt 0x0
	v_cmpx_lt_i16_e32 0x7f, v9
	s_xor_b32 s12, exec_lo, s12
	s_cbranch_execz .LBB7_1627
; %bb.1605:
	s_mov_b32 s7, -1
	s_mov_b32 s13, exec_lo
	v_cmpx_eq_u16_e32 0x80, v9
; %bb.1606:
	s_xor_b32 s7, exec_lo, -1
; %bb.1607:
	s_or_b32 exec_lo, exec_lo, s13
	s_delay_alu instid0(SALU_CYCLE_1)
	s_and_b32 s7, s7, exec_lo
	s_or_saveexec_b32 s12, s12
	v_mov_b64_e32 v[16:17], 0x7ff8000020000000
	s_xor_b32 exec_lo, exec_lo, s12
	s_cbranch_execnz .LBB7_1628
.LBB7_1608:
	s_or_b32 exec_lo, exec_lo, s12
	s_and_saveexec_b32 s12, s7
	s_cbranch_execz .LBB7_1610
.LBB7_1609:
	v_and_b32_e32 v11, 0xffff, v9
	s_delay_alu instid0(VALU_DEP_1) | instskip(SKIP_1) | instid1(VALU_DEP_2)
	v_dual_lshlrev_b32 v9, 24, v9 :: v_dual_bitop2_b32 v13, 3, v11 bitop3:0x40
	v_bfe_u32 v17, v11, 2, 5
	v_and_b32_e32 v9, 0x80000000, v9
	s_delay_alu instid0(VALU_DEP_3) | instskip(NEXT) | instid1(VALU_DEP_3)
	v_clz_i32_u32_e32 v15, v13
	v_cmp_eq_u32_e32 vcc_lo, 0, v17
	s_delay_alu instid0(VALU_DEP_2) | instskip(NEXT) | instid1(VALU_DEP_1)
	v_min_u32_e32 v15, 32, v15
	v_subrev_nc_u32_e32 v16, 29, v15
	v_sub_nc_u32_e32 v15, 30, v15
	s_delay_alu instid0(VALU_DEP_2) | instskip(NEXT) | instid1(VALU_DEP_2)
	v_lshlrev_b32_e32 v11, v16, v11
	v_cndmask_b32_e32 v15, v17, v15, vcc_lo
	s_delay_alu instid0(VALU_DEP_2) | instskip(NEXT) | instid1(VALU_DEP_1)
	v_and_b32_e32 v11, 3, v11
	v_cndmask_b32_e32 v11, v13, v11, vcc_lo
	s_delay_alu instid0(VALU_DEP_3) | instskip(NEXT) | instid1(VALU_DEP_2)
	v_lshl_add_u32 v13, v15, 23, 0x37800000
	v_lshlrev_b32_e32 v11, 21, v11
	s_delay_alu instid0(VALU_DEP_1) | instskip(NEXT) | instid1(VALU_DEP_1)
	v_or3_b32 v9, v9, v13, v11
	v_cvt_f64_f32_e32 v[16:17], v9
.LBB7_1610:
	s_or_b32 exec_lo, exec_lo, s12
	s_mov_b32 s7, 0
	s_branch .LBB7_1616
.LBB7_1611:
	s_mov_b32 s7, -1
                                        ; implicit-def: $vgpr16_vgpr17
	s_branch .LBB7_1622
.LBB7_1612:
	s_or_saveexec_b32 s13, s13
	v_mov_b64_e32 v[16:17], 0x7ff8000020000000
	s_xor_b32 exec_lo, exec_lo, s13
	s_cbranch_execz .LBB7_1595
.LBB7_1613:
	v_cmp_ne_u16_e32 vcc_lo, 0, v9
	v_mov_b64_e32 v[16:17], 0
	s_and_not1_b32 s12, s12, exec_lo
	s_and_b32 s14, vcc_lo, exec_lo
	s_delay_alu instid0(SALU_CYCLE_1)
	s_or_b32 s12, s12, s14
	s_or_b32 exec_lo, exec_lo, s13
	s_and_saveexec_b32 s13, s12
	s_cbranch_execnz .LBB7_1596
	s_branch .LBB7_1597
.LBB7_1614:
	s_mov_b32 s7, -1
                                        ; implicit-def: $vgpr16_vgpr17
	s_branch .LBB7_1619
.LBB7_1615:
	s_mov_b32 s7, -1
                                        ; implicit-def: $vgpr16_vgpr17
.LBB7_1616:
	s_delay_alu instid0(SALU_CYCLE_1)
	s_and_b32 vcc_lo, exec_lo, s7
	s_cbranch_vccz .LBB7_1618
; %bb.1617:
	global_load_u8 v9, v[0:1], off
	s_wait_loadcnt 0x0
	v_lshlrev_b32_e32 v9, 24, v9
	s_delay_alu instid0(VALU_DEP_1) | instskip(NEXT) | instid1(VALU_DEP_1)
	v_and_b32_e32 v11, 0x7f000000, v9
	v_clz_i32_u32_e32 v13, v11
	v_cmp_ne_u32_e32 vcc_lo, 0, v11
	v_add_nc_u32_e32 v16, 0x1000000, v11
	s_delay_alu instid0(VALU_DEP_3) | instskip(NEXT) | instid1(VALU_DEP_1)
	v_min_u32_e32 v13, 32, v13
	v_sub_nc_u32_e64 v13, v13, 4 clamp
	s_delay_alu instid0(VALU_DEP_1) | instskip(NEXT) | instid1(VALU_DEP_1)
	v_dual_lshlrev_b32 v15, v13, v11 :: v_dual_lshlrev_b32 v13, 23, v13
	v_lshrrev_b32_e32 v15, 4, v15
	s_delay_alu instid0(VALU_DEP_1) | instskip(NEXT) | instid1(VALU_DEP_1)
	v_dual_sub_nc_u32 v13, v15, v13 :: v_dual_ashrrev_i32 v15, 8, v16
	v_add_nc_u32_e32 v13, 0x3c000000, v13
	s_delay_alu instid0(VALU_DEP_1) | instskip(NEXT) | instid1(VALU_DEP_1)
	v_and_or_b32 v13, 0x7f800000, v15, v13
	v_cndmask_b32_e32 v11, 0, v13, vcc_lo
	s_delay_alu instid0(VALU_DEP_1) | instskip(NEXT) | instid1(VALU_DEP_1)
	v_and_or_b32 v9, 0x80000000, v9, v11
	v_cvt_f64_f32_e32 v[16:17], v9
.LBB7_1618:
	s_mov_b32 s7, 0
.LBB7_1619:
	s_delay_alu instid0(SALU_CYCLE_1)
	s_and_not1_b32 vcc_lo, exec_lo, s7
	s_cbranch_vccnz .LBB7_1621
; %bb.1620:
	global_load_u8 v9, v[0:1], off
	s_wait_loadcnt 0x0
	v_lshlrev_b32_e32 v11, 25, v9
	v_lshlrev_b16 v9, 8, v9
	s_delay_alu instid0(VALU_DEP_1) | instskip(SKIP_1) | instid1(VALU_DEP_2)
	v_and_or_b32 v15, 0x7f00, v9, 0.5
	v_bfe_i32 v9, v9, 0, 16
	v_add_f32_e32 v15, -0.5, v15
	v_lshrrev_b32_e32 v13, 4, v11
	v_cmp_gt_u32_e32 vcc_lo, 0x8000000, v11
	s_delay_alu instid0(VALU_DEP_2) | instskip(NEXT) | instid1(VALU_DEP_1)
	v_or_b32_e32 v13, 0x70000000, v13
	v_mul_f32_e32 v13, 0x7800000, v13
	s_delay_alu instid0(VALU_DEP_1) | instskip(NEXT) | instid1(VALU_DEP_1)
	v_cndmask_b32_e32 v11, v13, v15, vcc_lo
	v_and_or_b32 v9, 0x80000000, v9, v11
	s_delay_alu instid0(VALU_DEP_1)
	v_cvt_f64_f32_e32 v[16:17], v9
.LBB7_1621:
	s_mov_b32 s7, 0
	s_mov_b32 s12, -1
.LBB7_1622:
	s_and_not1_b32 vcc_lo, exec_lo, s7
	s_mov_b32 s7, 0
	s_cbranch_vccnz .LBB7_1633
; %bb.1623:
	s_cmp_gt_i32 s11, 14
	s_cbranch_scc0 .LBB7_1626
; %bb.1624:
	s_cmp_eq_u32 s11, 15
	s_cbranch_scc0 .LBB7_1629
; %bb.1625:
	global_load_u16 v9, v[0:1], off
	s_mov_b32 s6, 0
	s_mov_b32 s12, -1
	s_wait_loadcnt 0x0
	v_lshlrev_b32_e32 v9, 16, v9
	s_delay_alu instid0(VALU_DEP_1)
	v_cvt_f64_f32_e32 v[16:17], v9
	s_branch .LBB7_1631
.LBB7_1626:
	s_mov_b32 s7, -1
	s_branch .LBB7_1630
.LBB7_1627:
	s_or_saveexec_b32 s12, s12
	v_mov_b64_e32 v[16:17], 0x7ff8000020000000
	s_xor_b32 exec_lo, exec_lo, s12
	s_cbranch_execz .LBB7_1608
.LBB7_1628:
	v_cmp_ne_u16_e32 vcc_lo, 0, v9
	v_mov_b64_e32 v[16:17], 0
	s_and_not1_b32 s7, s7, exec_lo
	s_and_b32 s13, vcc_lo, exec_lo
	s_delay_alu instid0(SALU_CYCLE_1)
	s_or_b32 s7, s7, s13
	s_or_b32 exec_lo, exec_lo, s12
	s_and_saveexec_b32 s12, s7
	s_cbranch_execnz .LBB7_1609
	s_branch .LBB7_1610
.LBB7_1629:
	s_mov_b32 s6, -1
.LBB7_1630:
                                        ; implicit-def: $vgpr16_vgpr17
.LBB7_1631:
	s_and_b32 vcc_lo, exec_lo, s7
	s_mov_b32 s7, 0
	s_cbranch_vccz .LBB7_1633
; %bb.1632:
	s_cmp_lg_u32 s11, 11
	s_mov_b32 s7, -1
	s_cselect_b32 s6, -1, 0
.LBB7_1633:
	s_delay_alu instid0(SALU_CYCLE_1)
	s_and_b32 vcc_lo, exec_lo, s6
	s_cbranch_vccnz .LBB7_2169
; %bb.1634:
	s_and_not1_b32 vcc_lo, exec_lo, s7
	s_cbranch_vccnz .LBB7_1636
.LBB7_1635:
	global_load_u8 v9, v[0:1], off
	v_mov_b32_e32 v16, 0
	s_mov_b32 s12, -1
	s_wait_loadcnt 0x0
	v_cmp_ne_u16_e32 vcc_lo, 0, v9
	v_cndmask_b32_e64 v17, 0, 0x3ff00000, vcc_lo
.LBB7_1636:
	s_mov_b32 s6, 0
.LBB7_1637:
	s_delay_alu instid0(SALU_CYCLE_1)
	s_and_b32 vcc_lo, exec_lo, s6
	s_cbranch_vccz .LBB7_1686
; %bb.1638:
	s_cmp_lt_i32 s11, 5
	s_cbranch_scc1 .LBB7_1643
; %bb.1639:
	s_cmp_lt_i32 s11, 8
	s_cbranch_scc1 .LBB7_1644
	;; [unrolled: 3-line block ×3, first 2 shown]
; %bb.1641:
	s_cmp_gt_i32 s11, 9
	s_cbranch_scc0 .LBB7_1646
; %bb.1642:
	global_load_b64 v[16:17], v[0:1], off
	s_mov_b32 s6, 0
	s_branch .LBB7_1647
.LBB7_1643:
	s_mov_b32 s6, -1
                                        ; implicit-def: $vgpr16_vgpr17
	s_branch .LBB7_1665
.LBB7_1644:
	s_mov_b32 s6, -1
                                        ; implicit-def: $vgpr16_vgpr17
	s_branch .LBB7_1653
.LBB7_1645:
	s_mov_b32 s6, -1
                                        ; implicit-def: $vgpr16_vgpr17
	s_branch .LBB7_1650
.LBB7_1646:
	s_mov_b32 s6, -1
                                        ; implicit-def: $vgpr16_vgpr17
.LBB7_1647:
	s_delay_alu instid0(SALU_CYCLE_1)
	s_and_not1_b32 vcc_lo, exec_lo, s6
	s_cbranch_vccnz .LBB7_1649
; %bb.1648:
	global_load_b32 v9, v[0:1], off
	s_wait_loadcnt 0x0
	v_cvt_f64_f32_e32 v[16:17], v9
.LBB7_1649:
	s_mov_b32 s6, 0
.LBB7_1650:
	s_delay_alu instid0(SALU_CYCLE_1)
	s_and_not1_b32 vcc_lo, exec_lo, s6
	s_cbranch_vccnz .LBB7_1652
; %bb.1651:
	global_load_b32 v9, v[0:1], off
	s_wait_loadcnt 0x0
	v_cvt_f32_f16_e32 v9, v9
	s_delay_alu instid0(VALU_DEP_1)
	v_cvt_f64_f32_e32 v[16:17], v9
.LBB7_1652:
	s_mov_b32 s6, 0
.LBB7_1653:
	s_delay_alu instid0(SALU_CYCLE_1)
	s_and_not1_b32 vcc_lo, exec_lo, s6
	s_cbranch_vccnz .LBB7_1664
; %bb.1654:
	s_cmp_lt_i32 s11, 6
	s_cbranch_scc1 .LBB7_1657
; %bb.1655:
	s_cmp_gt_i32 s11, 6
	s_cbranch_scc0 .LBB7_1658
; %bb.1656:
	s_wait_loadcnt 0x0
	global_load_b64 v[16:17], v[0:1], off
	s_mov_b32 s6, 0
	s_branch .LBB7_1659
.LBB7_1657:
	s_mov_b32 s6, -1
                                        ; implicit-def: $vgpr16_vgpr17
	s_branch .LBB7_1662
.LBB7_1658:
	s_mov_b32 s6, -1
                                        ; implicit-def: $vgpr16_vgpr17
.LBB7_1659:
	s_delay_alu instid0(SALU_CYCLE_1)
	s_and_not1_b32 vcc_lo, exec_lo, s6
	s_cbranch_vccnz .LBB7_1661
; %bb.1660:
	global_load_b32 v9, v[0:1], off
	s_wait_loadcnt 0x0
	v_cvt_f64_f32_e32 v[16:17], v9
.LBB7_1661:
	s_mov_b32 s6, 0
.LBB7_1662:
	s_delay_alu instid0(SALU_CYCLE_1)
	s_and_not1_b32 vcc_lo, exec_lo, s6
	s_cbranch_vccnz .LBB7_1664
; %bb.1663:
	global_load_u16 v9, v[0:1], off
	s_wait_loadcnt 0x0
	v_cvt_f32_f16_e32 v9, v9
	s_delay_alu instid0(VALU_DEP_1)
	v_cvt_f64_f32_e32 v[16:17], v9
.LBB7_1664:
	s_mov_b32 s6, 0
.LBB7_1665:
	s_delay_alu instid0(SALU_CYCLE_1)
	s_and_not1_b32 vcc_lo, exec_lo, s6
	s_cbranch_vccnz .LBB7_1685
; %bb.1666:
	s_cmp_lt_i32 s11, 2
	s_cbranch_scc1 .LBB7_1670
; %bb.1667:
	s_cmp_lt_i32 s11, 3
	s_cbranch_scc1 .LBB7_1671
; %bb.1668:
	s_cmp_gt_i32 s11, 3
	s_cbranch_scc0 .LBB7_1672
; %bb.1669:
	s_wait_loadcnt 0x0
	global_load_b64 v[16:17], v[0:1], off
	s_mov_b32 s6, 0
	s_wait_loadcnt 0x0
	v_cvt_f64_i32_e32 v[18:19], v17
	v_cvt_f64_u32_e32 v[16:17], v16
	s_delay_alu instid0(VALU_DEP_2) | instskip(NEXT) | instid1(VALU_DEP_1)
	v_ldexp_f64 v[18:19], v[18:19], 32
	v_add_f64_e32 v[16:17], v[18:19], v[16:17]
	s_branch .LBB7_1673
.LBB7_1670:
	s_mov_b32 s6, -1
                                        ; implicit-def: $vgpr16_vgpr17
	s_branch .LBB7_1679
.LBB7_1671:
	s_mov_b32 s6, -1
                                        ; implicit-def: $vgpr16_vgpr17
	s_branch .LBB7_1676
.LBB7_1672:
	s_mov_b32 s6, -1
                                        ; implicit-def: $vgpr16_vgpr17
.LBB7_1673:
	s_delay_alu instid0(SALU_CYCLE_1)
	s_and_not1_b32 vcc_lo, exec_lo, s6
	s_cbranch_vccnz .LBB7_1675
; %bb.1674:
	global_load_b32 v9, v[0:1], off
	s_wait_loadcnt 0x0
	v_cvt_f64_i32_e32 v[16:17], v9
.LBB7_1675:
	s_mov_b32 s6, 0
.LBB7_1676:
	s_delay_alu instid0(SALU_CYCLE_1)
	s_and_not1_b32 vcc_lo, exec_lo, s6
	s_cbranch_vccnz .LBB7_1678
; %bb.1677:
	global_load_i16 v9, v[0:1], off
	s_wait_loadcnt 0x0
	v_cvt_f64_i32_e32 v[16:17], v9
.LBB7_1678:
	s_mov_b32 s6, 0
.LBB7_1679:
	s_delay_alu instid0(SALU_CYCLE_1)
	s_and_not1_b32 vcc_lo, exec_lo, s6
	s_cbranch_vccnz .LBB7_1685
; %bb.1680:
	s_cmp_gt_i32 s11, 0
	s_mov_b32 s6, 0
	s_cbranch_scc0 .LBB7_1682
; %bb.1681:
	global_load_i8 v9, v[0:1], off
	s_wait_loadcnt 0x0
	v_cvt_f64_i32_e32 v[16:17], v9
	s_branch .LBB7_1683
.LBB7_1682:
	s_mov_b32 s6, -1
                                        ; implicit-def: $vgpr16_vgpr17
.LBB7_1683:
	s_delay_alu instid0(SALU_CYCLE_1)
	s_and_not1_b32 vcc_lo, exec_lo, s6
	s_cbranch_vccnz .LBB7_1685
; %bb.1684:
	global_load_u8 v0, v[0:1], off
	s_wait_loadcnt 0x0
	v_cvt_f64_u32_e32 v[16:17], v0
.LBB7_1685:
	s_mov_b32 s12, -1
.LBB7_1686:
	s_delay_alu instid0(SALU_CYCLE_1)
	s_and_not1_b32 vcc_lo, exec_lo, s12
	s_cbranch_vccnz .LBB7_1767
; %bb.1687:
	s_wait_xcnt 0x0
	v_mov_b64_e32 v[0:1], 1.0
	s_mov_b32 s6, exec_lo
	s_wait_loadcnt 0x0
	s_delay_alu instid0(VALU_DEP_2)
	v_cmpx_lt_f64_e32 s[0:1], v[16:17]
	s_cbranch_execz .LBB7_1689
; %bb.1688:
	v_add_f64_e32 v[0:1], 0x3e7ad7f29abcaf48, v[16:17]
	s_delay_alu instid0(VALU_DEP_1) | instskip(NEXT) | instid1(VALU_DEP_1)
	v_div_scale_f64 v[16:17], null, v[0:1], v[0:1], s[0:1]
	v_rcp_f64_e32 v[18:19], v[16:17]
	v_nop
	s_delay_alu instid0(TRANS32_DEP_1) | instskip(NEXT) | instid1(VALU_DEP_1)
	v_fma_f64 v[20:21], -v[16:17], v[18:19], 1.0
	v_fmac_f64_e32 v[18:19], v[18:19], v[20:21]
	s_delay_alu instid0(VALU_DEP_1) | instskip(NEXT) | instid1(VALU_DEP_1)
	v_fma_f64 v[20:21], -v[16:17], v[18:19], 1.0
	v_fmac_f64_e32 v[18:19], v[18:19], v[20:21]
	v_div_scale_f64 v[20:21], vcc_lo, s[0:1], v[0:1], s[0:1]
	s_delay_alu instid0(VALU_DEP_1) | instskip(NEXT) | instid1(VALU_DEP_1)
	v_mul_f64_e32 v[22:23], v[20:21], v[18:19]
	v_fma_f64 v[16:17], -v[16:17], v[22:23], v[20:21]
	s_delay_alu instid0(VALU_DEP_1) | instskip(NEXT) | instid1(VALU_DEP_1)
	v_div_fmas_f64 v[16:17], v[16:17], v[18:19], v[22:23]
	v_div_fixup_f64 v[0:1], v[16:17], v[0:1], s[0:1]
.LBB7_1689:
	s_or_b32 exec_lo, exec_lo, s6
	s_load_b32 s0, s[2:3], 0x160
	v_mov_b32_e32 v9, 0
	s_delay_alu instid0(VALU_DEP_1) | instskip(SKIP_2) | instid1(SALU_CYCLE_1)
	v_add_nc_u64_e32 v[16:17], s[4:5], v[8:9]
	s_wait_kmcnt 0x0
	s_and_b32 s1, s0, 0xff
	s_cmp_lt_i32 s1, 11
	s_cbranch_scc1 .LBB7_1812
; %bb.1690:
	s_and_b32 s2, 0xffff, s1
	s_mov_b32 s7, -1
	s_mov_b32 s3, 0
	s_cmp_gt_i32 s2, 25
	s_mov_b32 s6, 0
	s_mov_b32 s0, 0
	s_cbranch_scc0 .LBB7_1723
; %bb.1691:
	s_cmp_gt_i32 s2, 28
	s_cbranch_scc0 .LBB7_1706
; %bb.1692:
	s_cmp_gt_i32 s2, 43
	;; [unrolled: 3-line block ×3, first 2 shown]
	s_cbranch_scc0 .LBB7_1696
; %bb.1694:
	s_mov_b32 s0, -1
	s_mov_b32 s7, 0
	s_cmp_eq_u32 s2, 46
	s_cbranch_scc0 .LBB7_1696
; %bb.1695:
	v_cvt_f32_f64_e32 v8, v[6:7]
	s_mov_b32 s0, 0
	s_mov_b32 s6, -1
	s_delay_alu instid0(VALU_DEP_1) | instskip(SKIP_1) | instid1(VALU_DEP_2)
	v_bfe_u32 v9, v8, 16, 1
	v_cmp_o_f32_e32 vcc_lo, v8, v8
	v_add3_u32 v9, v8, v9, 0x7fff
	s_delay_alu instid0(VALU_DEP_1) | instskip(NEXT) | instid1(VALU_DEP_1)
	v_lshrrev_b32_e32 v9, 16, v9
	v_cndmask_b32_e32 v8, 0x7fc0, v9, vcc_lo
	global_store_b32 v[16:17], v8, off
.LBB7_1696:
	s_and_b32 vcc_lo, exec_lo, s7
	s_cbranch_vccz .LBB7_1701
; %bb.1697:
	s_cmp_eq_u32 s2, 44
	s_mov_b32 s0, -1
	s_cbranch_scc0 .LBB7_1701
; %bb.1698:
	s_wait_xcnt 0x0
	v_cvt_f32_f64_e32 v8, v[6:7]
	v_mov_b32_e32 v9, 0xff
	s_mov_b32 s6, exec_lo
	s_delay_alu instid0(VALU_DEP_2) | instskip(NEXT) | instid1(VALU_DEP_1)
	v_bfe_u32 v11, v8, 23, 8
	v_cmpx_ne_u32_e32 0xff, v11
	s_cbranch_execz .LBB7_1700
; %bb.1699:
	v_and_b32_e32 v9, 0x400000, v8
	v_and_or_b32 v11, 0x3fffff, v8, v11
	v_lshrrev_b32_e32 v8, 23, v8
	s_delay_alu instid0(VALU_DEP_3) | instskip(NEXT) | instid1(VALU_DEP_3)
	v_cmp_ne_u32_e32 vcc_lo, 0, v9
	v_cmp_ne_u32_e64 s0, 0, v11
	s_and_b32 s0, vcc_lo, s0
	s_delay_alu instid0(SALU_CYCLE_1) | instskip(NEXT) | instid1(VALU_DEP_1)
	v_cndmask_b32_e64 v9, 0, 1, s0
	v_add_nc_u32_e32 v9, v8, v9
.LBB7_1700:
	s_or_b32 exec_lo, exec_lo, s6
	s_mov_b32 s0, 0
	s_mov_b32 s6, -1
	global_store_b8 v[16:17], v9, off
.LBB7_1701:
	s_mov_b32 s7, 0
.LBB7_1702:
	s_delay_alu instid0(SALU_CYCLE_1)
	s_and_b32 vcc_lo, exec_lo, s7
	s_cbranch_vccz .LBB7_1705
; %bb.1703:
	s_cmp_eq_u32 s2, 29
	s_mov_b32 s0, -1
	s_cbranch_scc0 .LBB7_1705
; %bb.1704:
	s_wait_xcnt 0x0
	v_trunc_f64_e32 v[8:9], v[6:7]
	s_mov_b32 s0, 0
	s_mov_b32 s6, -1
	s_delay_alu instid0(VALU_DEP_1) | instskip(NEXT) | instid1(VALU_DEP_1)
	v_ldexp_f64 v[18:19], v[8:9], 0xffffffe0
	v_floor_f64_e32 v[18:19], v[18:19]
	s_delay_alu instid0(VALU_DEP_1) | instskip(SKIP_1) | instid1(VALU_DEP_2)
	v_fmamk_f64 v[8:9], v[18:19], 0xc1f00000, v[8:9]
	v_cvt_u32_f64_e32 v19, v[18:19]
	v_cvt_u32_f64_e32 v18, v[8:9]
	global_store_b64 v[16:17], v[18:19], off
.LBB7_1705:
	s_mov_b32 s7, 0
.LBB7_1706:
	s_delay_alu instid0(SALU_CYCLE_1)
	s_and_b32 vcc_lo, exec_lo, s7
	s_cbranch_vccz .LBB7_1722
; %bb.1707:
	s_cmp_lt_i32 s2, 27
	s_mov_b32 s6, -1
	s_cbranch_scc1 .LBB7_1713
; %bb.1708:
	s_wait_xcnt 0x0
	v_cvt_u32_f64_e32 v8, v[6:7]
	s_cmp_gt_i32 s2, 27
	s_cbranch_scc0 .LBB7_1710
; %bb.1709:
	s_mov_b32 s6, 0
	global_store_b32 v[16:17], v8, off
.LBB7_1710:
	s_and_not1_b32 vcc_lo, exec_lo, s6
	s_cbranch_vccnz .LBB7_1712
; %bb.1711:
	global_store_b16 v[16:17], v8, off
.LBB7_1712:
	s_mov_b32 s6, 0
.LBB7_1713:
	s_delay_alu instid0(SALU_CYCLE_1)
	s_and_not1_b32 vcc_lo, exec_lo, s6
	s_cbranch_vccnz .LBB7_1721
; %bb.1714:
	s_wait_xcnt 0x0
	v_cvt_f32_f64_e32 v8, v[6:7]
	v_mov_b32_e32 v11, 0x80
	s_mov_b32 s6, exec_lo
	s_delay_alu instid0(VALU_DEP_2) | instskip(NEXT) | instid1(VALU_DEP_1)
	v_and_b32_e32 v9, 0x7fffffff, v8
	v_cmpx_gt_u32_e32 0x43800000, v9
	s_cbranch_execz .LBB7_1720
; %bb.1715:
	v_cmp_lt_u32_e32 vcc_lo, 0x3bffffff, v9
	s_mov_b32 s7, 0
                                        ; implicit-def: $vgpr9
	s_and_saveexec_b32 s11, vcc_lo
	s_delay_alu instid0(SALU_CYCLE_1)
	s_xor_b32 s11, exec_lo, s11
	s_cbranch_execz .LBB7_2170
; %bb.1716:
	v_bfe_u32 v9, v8, 20, 1
	s_mov_b32 s7, exec_lo
	s_delay_alu instid0(VALU_DEP_1) | instskip(NEXT) | instid1(VALU_DEP_1)
	v_add3_u32 v9, v8, v9, 0x487ffff
	v_lshrrev_b32_e32 v9, 20, v9
	s_and_not1_saveexec_b32 s11, s11
	s_cbranch_execnz .LBB7_2171
.LBB7_1717:
	s_or_b32 exec_lo, exec_lo, s11
	v_mov_b32_e32 v11, 0
	s_and_saveexec_b32 s11, s7
.LBB7_1718:
	v_lshrrev_b32_e32 v8, 24, v8
	s_delay_alu instid0(VALU_DEP_1)
	v_and_or_b32 v11, 0x80, v8, v9
.LBB7_1719:
	s_or_b32 exec_lo, exec_lo, s11
.LBB7_1720:
	s_delay_alu instid0(SALU_CYCLE_1)
	s_or_b32 exec_lo, exec_lo, s6
	global_store_b8 v[16:17], v11, off
.LBB7_1721:
	s_mov_b32 s6, -1
.LBB7_1722:
	s_mov_b32 s7, 0
.LBB7_1723:
	s_delay_alu instid0(SALU_CYCLE_1)
	s_and_b32 vcc_lo, exec_lo, s7
	s_cbranch_vccz .LBB7_1763
; %bb.1724:
	s_cmp_gt_i32 s2, 22
	s_mov_b32 s3, -1
	s_cbranch_scc0 .LBB7_1756
; %bb.1725:
	s_cmp_lt_i32 s2, 24
	s_cbranch_scc1 .LBB7_1745
; %bb.1726:
	s_cmp_gt_i32 s2, 24
	s_cbranch_scc0 .LBB7_1734
; %bb.1727:
	s_wait_xcnt 0x0
	v_cvt_f32_f64_e32 v8, v[6:7]
	v_mov_b32_e32 v11, 0x80
	s_mov_b32 s3, exec_lo
	s_delay_alu instid0(VALU_DEP_2) | instskip(NEXT) | instid1(VALU_DEP_1)
	v_and_b32_e32 v9, 0x7fffffff, v8
	v_cmpx_gt_u32_e32 0x47800000, v9
	s_cbranch_execz .LBB7_1733
; %bb.1728:
	v_cmp_lt_u32_e32 vcc_lo, 0x37ffffff, v9
	s_mov_b32 s6, 0
                                        ; implicit-def: $vgpr9
	s_and_saveexec_b32 s7, vcc_lo
	s_delay_alu instid0(SALU_CYCLE_1)
	s_xor_b32 s7, exec_lo, s7
	s_cbranch_execz .LBB7_2173
; %bb.1729:
	v_bfe_u32 v9, v8, 21, 1
	s_mov_b32 s6, exec_lo
	s_delay_alu instid0(VALU_DEP_1) | instskip(NEXT) | instid1(VALU_DEP_1)
	v_add3_u32 v9, v8, v9, 0x88fffff
	v_lshrrev_b32_e32 v9, 21, v9
	s_and_not1_saveexec_b32 s7, s7
	s_cbranch_execnz .LBB7_2174
.LBB7_1730:
	s_or_b32 exec_lo, exec_lo, s7
	v_mov_b32_e32 v11, 0
	s_and_saveexec_b32 s7, s6
.LBB7_1731:
	v_lshrrev_b32_e32 v8, 24, v8
	s_delay_alu instid0(VALU_DEP_1)
	v_and_or_b32 v11, 0x80, v8, v9
.LBB7_1732:
	s_or_b32 exec_lo, exec_lo, s7
.LBB7_1733:
	s_delay_alu instid0(SALU_CYCLE_1)
	s_or_b32 exec_lo, exec_lo, s3
	s_mov_b32 s3, 0
	global_store_b8 v[16:17], v11, off
.LBB7_1734:
	s_and_b32 vcc_lo, exec_lo, s3
	s_cbranch_vccz .LBB7_1744
; %bb.1735:
	s_wait_xcnt 0x0
	v_cvt_f32_f64_e32 v8, v[6:7]
	s_mov_b32 s3, exec_lo
                                        ; implicit-def: $vgpr9
	s_delay_alu instid0(VALU_DEP_1) | instskip(NEXT) | instid1(VALU_DEP_1)
	v_and_b32_e32 v11, 0x7fffffff, v8
	v_cmpx_gt_u32_e32 0x43f00000, v11
	s_xor_b32 s3, exec_lo, s3
	s_cbranch_execz .LBB7_1741
; %bb.1736:
	s_mov_b32 s6, exec_lo
                                        ; implicit-def: $vgpr9
	v_cmpx_lt_u32_e32 0x3c7fffff, v11
	s_xor_b32 s6, exec_lo, s6
; %bb.1737:
	v_bfe_u32 v9, v8, 20, 1
	s_delay_alu instid0(VALU_DEP_1) | instskip(NEXT) | instid1(VALU_DEP_1)
	v_add3_u32 v9, v8, v9, 0x407ffff
	v_and_b32_e32 v11, 0xff00000, v9
	v_lshrrev_b32_e32 v9, 20, v9
	s_delay_alu instid0(VALU_DEP_2) | instskip(NEXT) | instid1(VALU_DEP_2)
	v_cmp_ne_u32_e32 vcc_lo, 0x7f00000, v11
	v_cndmask_b32_e32 v9, 0x7e, v9, vcc_lo
; %bb.1738:
	s_and_not1_saveexec_b32 s6, s6
; %bb.1739:
	v_add_f32_e64 v9, 0x46800000, |v8|
; %bb.1740:
	s_or_b32 exec_lo, exec_lo, s6
                                        ; implicit-def: $vgpr11
.LBB7_1741:
	s_and_not1_saveexec_b32 s3, s3
; %bb.1742:
	v_mov_b32_e32 v9, 0x7f
	v_cmp_lt_u32_e32 vcc_lo, 0x7f800000, v11
	s_delay_alu instid0(VALU_DEP_2)
	v_cndmask_b32_e32 v9, 0x7e, v9, vcc_lo
; %bb.1743:
	s_or_b32 exec_lo, exec_lo, s3
	v_lshrrev_b32_e32 v8, 24, v8
	s_delay_alu instid0(VALU_DEP_1)
	v_and_or_b32 v8, 0x80, v8, v9
	global_store_b8 v[16:17], v8, off
.LBB7_1744:
	s_mov_b32 s3, 0
.LBB7_1745:
	s_delay_alu instid0(SALU_CYCLE_1)
	s_and_not1_b32 vcc_lo, exec_lo, s3
	s_cbranch_vccnz .LBB7_1755
; %bb.1746:
	s_wait_xcnt 0x0
	v_cvt_f32_f64_e32 v8, v[6:7]
	s_mov_b32 s3, exec_lo
                                        ; implicit-def: $vgpr9
	s_delay_alu instid0(VALU_DEP_1) | instskip(NEXT) | instid1(VALU_DEP_1)
	v_and_b32_e32 v11, 0x7fffffff, v8
	v_cmpx_gt_u32_e32 0x47800000, v11
	s_xor_b32 s3, exec_lo, s3
	s_cbranch_execz .LBB7_1752
; %bb.1747:
	s_mov_b32 s6, exec_lo
                                        ; implicit-def: $vgpr9
	v_cmpx_lt_u32_e32 0x387fffff, v11
	s_xor_b32 s6, exec_lo, s6
; %bb.1748:
	v_bfe_u32 v9, v8, 21, 1
	s_delay_alu instid0(VALU_DEP_1) | instskip(NEXT) | instid1(VALU_DEP_1)
	v_add3_u32 v9, v8, v9, 0x80fffff
	v_lshrrev_b32_e32 v9, 21, v9
; %bb.1749:
	s_and_not1_saveexec_b32 s6, s6
; %bb.1750:
	v_add_f32_e64 v9, 0x43000000, |v8|
; %bb.1751:
	s_or_b32 exec_lo, exec_lo, s6
                                        ; implicit-def: $vgpr11
.LBB7_1752:
	s_and_not1_saveexec_b32 s3, s3
; %bb.1753:
	v_mov_b32_e32 v9, 0x7f
	v_cmp_lt_u32_e32 vcc_lo, 0x7f800000, v11
	s_delay_alu instid0(VALU_DEP_2)
	v_cndmask_b32_e32 v9, 0x7c, v9, vcc_lo
; %bb.1754:
	s_or_b32 exec_lo, exec_lo, s3
	v_lshrrev_b32_e32 v8, 24, v8
	s_delay_alu instid0(VALU_DEP_1)
	v_and_or_b32 v8, 0x80, v8, v9
	global_store_b8 v[16:17], v8, off
.LBB7_1755:
	s_mov_b32 s3, 0
	s_mov_b32 s6, -1
.LBB7_1756:
	s_and_not1_b32 vcc_lo, exec_lo, s3
	s_mov_b32 s3, 0
	s_cbranch_vccnz .LBB7_1763
; %bb.1757:
	s_cmp_gt_i32 s2, 14
	s_mov_b32 s3, -1
	s_cbranch_scc0 .LBB7_1761
; %bb.1758:
	s_cmp_eq_u32 s2, 15
	s_mov_b32 s0, -1
	s_cbranch_scc0 .LBB7_1760
; %bb.1759:
	s_wait_xcnt 0x0
	v_cvt_f32_f64_e32 v8, v[6:7]
	s_mov_b32 s0, 0
	s_mov_b32 s6, -1
	s_delay_alu instid0(VALU_DEP_1) | instskip(SKIP_1) | instid1(VALU_DEP_2)
	v_bfe_u32 v9, v8, 16, 1
	v_cmp_o_f32_e32 vcc_lo, v8, v8
	v_add3_u32 v9, v8, v9, 0x7fff
	s_delay_alu instid0(VALU_DEP_1) | instskip(NEXT) | instid1(VALU_DEP_1)
	v_lshrrev_b32_e32 v9, 16, v9
	v_cndmask_b32_e32 v8, 0x7fc0, v9, vcc_lo
	global_store_b16 v[16:17], v8, off
.LBB7_1760:
	s_mov_b32 s3, 0
.LBB7_1761:
	s_delay_alu instid0(SALU_CYCLE_1)
	s_and_b32 vcc_lo, exec_lo, s3
	s_mov_b32 s3, 0
	s_cbranch_vccz .LBB7_1763
; %bb.1762:
	s_cmp_lg_u32 s2, 11
	s_mov_b32 s3, -1
	s_cselect_b32 s0, -1, 0
.LBB7_1763:
	s_delay_alu instid0(SALU_CYCLE_1)
	s_and_b32 vcc_lo, exec_lo, s0
	s_cbranch_vccnz .LBB7_2172
; %bb.1764:
	s_and_not1_b32 vcc_lo, exec_lo, s3
	s_cbranch_vccnz .LBB7_1766
.LBB7_1765:
	v_cmp_neq_f64_e32 vcc_lo, 0, v[6:7]
	s_mov_b32 s6, -1
	s_wait_xcnt 0x0
	v_cndmask_b32_e64 v8, 0, 1, vcc_lo
	global_store_b8 v[16:17], v8, off
.LBB7_1766:
	s_mov_b32 s0, 0
	s_branch .LBB7_1813
.LBB7_1767:
	s_mov_b32 s0, 0
	s_wait_xcnt 0x0
	s_mov_b32 s3, 0
                                        ; implicit-def: $vgpr6_vgpr7
                                        ; implicit-def: $sgpr1
                                        ; implicit-def: $vgpr0_vgpr1
.LBB7_1768:
	s_and_not1_b32 s2, s8, exec_lo
	s_and_b32 s4, s10, exec_lo
	s_and_b32 s0, s0, exec_lo
	;; [unrolled: 1-line block ×3, first 2 shown]
	s_or_b32 s8, s2, s4
.LBB7_1769:
	s_wait_xcnt 0x0
	s_or_b32 exec_lo, exec_lo, s9
	s_and_saveexec_b32 s2, s8
	s_cbranch_execz .LBB7_1772
; %bb.1770:
	; divergent unreachable
	s_or_b32 exec_lo, exec_lo, s2
	s_and_saveexec_b32 s2, s34
	s_delay_alu instid0(SALU_CYCLE_1)
	s_xor_b32 s2, exec_lo, s2
	s_cbranch_execnz .LBB7_1773
.LBB7_1771:
	s_or_b32 exec_lo, exec_lo, s2
	s_and_saveexec_b32 s2, s0
	s_cbranch_execnz .LBB7_1774
	s_branch .LBB7_1811
.LBB7_1772:
	s_or_b32 exec_lo, exec_lo, s2
	s_and_saveexec_b32 s2, s34
	s_delay_alu instid0(SALU_CYCLE_1)
	s_xor_b32 s2, exec_lo, s2
	s_cbranch_execz .LBB7_1771
.LBB7_1773:
	s_delay_alu instid0(VALU_DEP_3)
	v_cmp_neq_f64_e32 vcc_lo, 0, v[0:1]
	v_cndmask_b32_e64 v2, 0, 1, vcc_lo
	s_wait_loadcnt 0x0
	global_store_b8 v[6:7], v2, off
	s_wait_xcnt 0x0
	s_or_b32 exec_lo, exec_lo, s2
	s_and_saveexec_b32 s2, s0
	s_cbranch_execz .LBB7_1811
.LBB7_1774:
	s_sext_i32_i16 s2, s1
	s_mov_b32 s0, -1
	s_cmp_lt_i32 s2, 5
	s_cbranch_scc1 .LBB7_1795
; %bb.1775:
	s_cmp_lt_i32 s2, 8
	s_cbranch_scc1 .LBB7_1785
; %bb.1776:
	s_cmp_lt_i32 s2, 9
	s_cbranch_scc1 .LBB7_1782
; %bb.1777:
	s_cmp_gt_i32 s2, 9
	s_cbranch_scc0 .LBB7_1779
; %bb.1778:
	v_mov_b32_e32 v2, 0
	s_mov_b32 s0, 0
	s_delay_alu instid0(VALU_DEP_1)
	v_mov_b32_e32 v3, v2
	s_wait_loadcnt 0x0
	global_store_b128 v[6:7], v[0:3], off
.LBB7_1779:
	s_and_not1_b32 vcc_lo, exec_lo, s0
	s_cbranch_vccnz .LBB7_1781
; %bb.1780:
	s_wait_xcnt 0x0
	v_cvt_f32_f64_e32 v2, v[0:1]
	v_mov_b32_e32 v3, 0
	s_wait_loadcnt 0x0
	global_store_b64 v[6:7], v[2:3], off
.LBB7_1781:
	s_mov_b32 s0, 0
.LBB7_1782:
	s_delay_alu instid0(SALU_CYCLE_1)
	s_and_not1_b32 vcc_lo, exec_lo, s0
	s_cbranch_vccnz .LBB7_1784
; %bb.1783:
	s_wait_xcnt 0x0
	v_and_or_b32 v2, 0x1ff, v1, v0
	v_lshrrev_b32_e32 v3, 8, v1
	v_bfe_u32 v4, v1, 20, 11
	s_delay_alu instid0(VALU_DEP_3) | instskip(NEXT) | instid1(VALU_DEP_2)
	v_cmp_ne_u32_e32 vcc_lo, 0, v2
	v_sub_nc_u32_e32 v5, 0x3f1, v4
	v_add_nc_u32_e32 v4, 0xfffffc10, v4
	v_cndmask_b32_e64 v2, 0, 1, vcc_lo
	s_delay_alu instid0(VALU_DEP_1) | instskip(NEXT) | instid1(VALU_DEP_4)
	v_and_or_b32 v2, 0xffe, v3, v2
	v_med3_i32 v3, v5, 0, 13
	s_delay_alu instid0(VALU_DEP_2) | instskip(NEXT) | instid1(VALU_DEP_1)
	v_or_b32_e32 v5, 0x1000, v2
	v_lshrrev_b32_e32 v8, v3, v5
	s_delay_alu instid0(VALU_DEP_1) | instskip(NEXT) | instid1(VALU_DEP_1)
	v_lshlrev_b32_e32 v3, v3, v8
	v_cmp_ne_u32_e32 vcc_lo, v3, v5
	v_lshl_or_b32 v5, v4, 12, v2
	v_cndmask_b32_e64 v3, 0, 1, vcc_lo
	v_cmp_gt_i32_e32 vcc_lo, 1, v4
	s_delay_alu instid0(VALU_DEP_2) | instskip(NEXT) | instid1(VALU_DEP_1)
	v_or_b32_e32 v3, v8, v3
	v_cndmask_b32_e32 v3, v5, v3, vcc_lo
	s_delay_alu instid0(VALU_DEP_1) | instskip(NEXT) | instid1(VALU_DEP_1)
	v_dual_lshrrev_b32 v3, 2, v3 :: v_dual_bitop2_b32 v5, 7, v3 bitop3:0x40
	v_cmp_lt_i32_e32 vcc_lo, 5, v5
	v_cndmask_b32_e64 v8, 0, 1, vcc_lo
	v_cmp_eq_u32_e32 vcc_lo, 3, v5
	v_cndmask_b32_e64 v5, 0, 1, vcc_lo
	v_cmp_ne_u32_e32 vcc_lo, 0, v2
	s_delay_alu instid0(VALU_DEP_2) | instskip(NEXT) | instid1(VALU_DEP_1)
	v_or_b32_e32 v5, v5, v8
	v_dual_mov_b32 v8, 0x7e00 :: v_dual_add_nc_u32 v3, v3, v5
	s_delay_alu instid0(VALU_DEP_1) | instskip(SKIP_2) | instid1(VALU_DEP_4)
	v_cndmask_b32_e32 v2, 0x7c00, v8, vcc_lo
	v_cmp_gt_i32_e32 vcc_lo, 31, v4
	v_lshrrev_b32_e32 v5, 16, v1
	v_cndmask_b32_e32 v3, 0x7c00, v3, vcc_lo
	v_cmp_eq_u32_e32 vcc_lo, 0x40f, v4
	s_delay_alu instid0(VALU_DEP_2) | instskip(NEXT) | instid1(VALU_DEP_4)
	v_cndmask_b32_e32 v2, v3, v2, vcc_lo
	v_and_b32_e32 v3, 0x8000, v5
	s_delay_alu instid0(VALU_DEP_1)
	v_bitop3_b32 v2, v3, 0xffff, v2 bitop3:0xc8
	s_wait_loadcnt 0x0
	global_store_b32 v[6:7], v2, off
.LBB7_1784:
	s_mov_b32 s0, 0
.LBB7_1785:
	s_delay_alu instid0(SALU_CYCLE_1)
	s_and_not1_b32 vcc_lo, exec_lo, s0
	s_cbranch_vccnz .LBB7_1794
; %bb.1786:
	s_sext_i32_i16 s2, s1
	s_mov_b32 s0, -1
	s_cmp_lt_i32 s2, 6
	s_cbranch_scc1 .LBB7_1792
; %bb.1787:
	s_cmp_gt_i32 s2, 6
	s_cbranch_scc0 .LBB7_1789
; %bb.1788:
	s_mov_b32 s0, 0
	s_wait_loadcnt 0x0
	global_store_b64 v[6:7], v[0:1], off
.LBB7_1789:
	s_and_not1_b32 vcc_lo, exec_lo, s0
	s_cbranch_vccnz .LBB7_1791
; %bb.1790:
	s_wait_xcnt 0x0
	v_cvt_f32_f64_e32 v2, v[0:1]
	s_wait_loadcnt 0x0
	global_store_b32 v[6:7], v2, off
.LBB7_1791:
	s_mov_b32 s0, 0
.LBB7_1792:
	s_delay_alu instid0(SALU_CYCLE_1)
	s_and_not1_b32 vcc_lo, exec_lo, s0
	s_cbranch_vccnz .LBB7_1794
; %bb.1793:
	s_wait_xcnt 0x0
	v_and_or_b32 v2, 0x1ff, v1, v0
	v_lshrrev_b32_e32 v3, 8, v1
	v_bfe_u32 v4, v1, 20, 11
	s_delay_alu instid0(VALU_DEP_3) | instskip(NEXT) | instid1(VALU_DEP_2)
	v_cmp_ne_u32_e32 vcc_lo, 0, v2
	v_sub_nc_u32_e32 v5, 0x3f1, v4
	v_add_nc_u32_e32 v4, 0xfffffc10, v4
	v_cndmask_b32_e64 v2, 0, 1, vcc_lo
	s_delay_alu instid0(VALU_DEP_1) | instskip(NEXT) | instid1(VALU_DEP_4)
	v_and_or_b32 v2, 0xffe, v3, v2
	v_med3_i32 v3, v5, 0, 13
	s_delay_alu instid0(VALU_DEP_2) | instskip(NEXT) | instid1(VALU_DEP_1)
	v_or_b32_e32 v5, 0x1000, v2
	v_lshrrev_b32_e32 v8, v3, v5
	s_delay_alu instid0(VALU_DEP_1) | instskip(NEXT) | instid1(VALU_DEP_1)
	v_lshlrev_b32_e32 v3, v3, v8
	v_cmp_ne_u32_e32 vcc_lo, v3, v5
	v_lshl_or_b32 v5, v4, 12, v2
	v_cndmask_b32_e64 v3, 0, 1, vcc_lo
	v_cmp_gt_i32_e32 vcc_lo, 1, v4
	s_delay_alu instid0(VALU_DEP_2) | instskip(NEXT) | instid1(VALU_DEP_1)
	v_or_b32_e32 v3, v8, v3
	v_cndmask_b32_e32 v3, v5, v3, vcc_lo
	s_delay_alu instid0(VALU_DEP_1) | instskip(NEXT) | instid1(VALU_DEP_1)
	v_dual_lshrrev_b32 v3, 2, v3 :: v_dual_bitop2_b32 v5, 7, v3 bitop3:0x40
	v_cmp_lt_i32_e32 vcc_lo, 5, v5
	v_cndmask_b32_e64 v8, 0, 1, vcc_lo
	v_cmp_eq_u32_e32 vcc_lo, 3, v5
	v_cndmask_b32_e64 v5, 0, 1, vcc_lo
	v_cmp_ne_u32_e32 vcc_lo, 0, v2
	s_delay_alu instid0(VALU_DEP_2) | instskip(NEXT) | instid1(VALU_DEP_1)
	v_or_b32_e32 v5, v5, v8
	v_dual_mov_b32 v8, 0x7e00 :: v_dual_add_nc_u32 v3, v3, v5
	s_delay_alu instid0(VALU_DEP_1) | instskip(SKIP_1) | instid1(VALU_DEP_3)
	v_cndmask_b32_e32 v2, 0x7c00, v8, vcc_lo
	v_cmp_gt_i32_e32 vcc_lo, 31, v4
	v_cndmask_b32_e32 v3, 0x7c00, v3, vcc_lo
	v_cmp_eq_u32_e32 vcc_lo, 0x40f, v4
	s_delay_alu instid0(VALU_DEP_2) | instskip(NEXT) | instid1(VALU_DEP_1)
	v_dual_cndmask_b32 v2, v3, v2 :: v_dual_lshrrev_b32 v3, 16, v1
	v_and_or_b32 v2, 0x8000, v3, v2
	s_wait_loadcnt 0x0
	global_store_b16 v[6:7], v2, off
.LBB7_1794:
	s_mov_b32 s0, 0
.LBB7_1795:
	s_delay_alu instid0(SALU_CYCLE_1)
	s_and_not1_b32 vcc_lo, exec_lo, s0
	s_cbranch_vccnz .LBB7_1811
; %bb.1796:
	s_sext_i32_i16 s2, s1
	s_mov_b32 s0, -1
	s_cmp_lt_i32 s2, 2
	s_cbranch_scc1 .LBB7_1806
; %bb.1797:
	s_cmp_lt_i32 s2, 3
	s_cbranch_scc1 .LBB7_1803
; %bb.1798:
	s_cmp_gt_i32 s2, 3
	s_cbranch_scc0 .LBB7_1800
; %bb.1799:
	s_wait_xcnt 0x0
	v_trunc_f64_e32 v[2:3], v[0:1]
	s_mov_b32 s0, 0
	s_delay_alu instid0(VALU_DEP_1) | instskip(NEXT) | instid1(VALU_DEP_1)
	v_ldexp_f64 v[4:5], v[2:3], 0xffffffe0
	v_floor_f64_e32 v[4:5], v[4:5]
	s_delay_alu instid0(VALU_DEP_1) | instskip(SKIP_1) | instid1(VALU_DEP_2)
	v_fmamk_f64 v[2:3], v[4:5], 0xc1f00000, v[2:3]
	v_cvt_i32_f64_e32 v5, v[4:5]
	v_cvt_u32_f64_e32 v4, v[2:3]
	s_wait_loadcnt 0x0
	global_store_b64 v[6:7], v[4:5], off
.LBB7_1800:
	s_and_not1_b32 vcc_lo, exec_lo, s0
	s_cbranch_vccnz .LBB7_1802
; %bb.1801:
	s_wait_xcnt 0x0
	v_cvt_i32_f64_e32 v2, v[0:1]
	s_wait_loadcnt 0x0
	global_store_b32 v[6:7], v2, off
.LBB7_1802:
	s_mov_b32 s0, 0
.LBB7_1803:
	s_delay_alu instid0(SALU_CYCLE_1)
	s_and_not1_b32 vcc_lo, exec_lo, s0
	s_cbranch_vccnz .LBB7_1805
; %bb.1804:
	s_wait_xcnt 0x0
	v_cvt_i32_f64_e32 v2, v[0:1]
	s_wait_loadcnt 0x0
	global_store_b16 v[6:7], v2, off
.LBB7_1805:
	s_mov_b32 s0, 0
.LBB7_1806:
	s_delay_alu instid0(SALU_CYCLE_1)
	s_and_not1_b32 vcc_lo, exec_lo, s0
	s_cbranch_vccnz .LBB7_1811
; %bb.1807:
	s_sext_i32_i16 s0, s1
	s_delay_alu instid0(SALU_CYCLE_1)
	s_cmp_gt_i32 s0, 0
	s_mov_b32 s0, -1
	s_cbranch_scc0 .LBB7_1809
; %bb.1808:
	s_wait_xcnt 0x0
	v_cvt_i32_f64_e32 v2, v[0:1]
	s_mov_b32 s0, 0
	s_wait_loadcnt 0x0
	global_store_b8 v[6:7], v2, off
.LBB7_1809:
	s_and_not1_b32 vcc_lo, exec_lo, s0
	s_cbranch_vccnz .LBB7_1811
; %bb.1810:
	s_wait_xcnt 0x0
	v_trunc_f64_e32 v[0:1], v[0:1]
	s_delay_alu instid0(VALU_DEP_1) | instskip(NEXT) | instid1(VALU_DEP_1)
	v_ldexp_f64 v[2:3], v[0:1], 0xffffffe0
	v_floor_f64_e32 v[2:3], v[2:3]
	s_delay_alu instid0(VALU_DEP_1) | instskip(NEXT) | instid1(VALU_DEP_1)
	v_fmamk_f64 v[0:1], v[2:3], 0xc1f00000, v[0:1]
	v_cvt_u32_f64_e32 v0, v[0:1]
	s_wait_loadcnt 0x0
	global_store_b8 v[6:7], v0, off
	s_endpgm
.LBB7_1811:
	s_endpgm
.LBB7_1812:
	s_mov_b32 s0, -1
	s_mov_b32 s6, 0
.LBB7_1813:
	s_and_b32 vcc_lo, exec_lo, s0
	s_cbranch_vccz .LBB7_1852
; %bb.1814:
	s_and_b32 s0, 0xffff, s1
	s_mov_b32 s2, -1
	s_cmp_lt_i32 s0, 5
	s_cbranch_scc1 .LBB7_1835
; %bb.1815:
	s_cmp_lt_i32 s0, 8
	s_cbranch_scc1 .LBB7_1825
; %bb.1816:
	;; [unrolled: 3-line block ×3, first 2 shown]
	s_cmp_gt_i32 s0, 9
	s_cbranch_scc0 .LBB7_1819
; %bb.1818:
	s_wait_xcnt 0x0
	v_mov_b32_e32 v8, 0
	s_mov_b32 s2, 0
	s_delay_alu instid0(VALU_DEP_1)
	v_mov_b32_e32 v9, v8
	global_store_b128 v[16:17], v[6:9], off
.LBB7_1819:
	s_and_not1_b32 vcc_lo, exec_lo, s2
	s_cbranch_vccnz .LBB7_1821
; %bb.1820:
	s_wait_xcnt 0x0
	v_cvt_f32_f64_e32 v8, v[6:7]
	v_mov_b32_e32 v9, 0
	global_store_b64 v[16:17], v[8:9], off
.LBB7_1821:
	s_mov_b32 s2, 0
.LBB7_1822:
	s_delay_alu instid0(SALU_CYCLE_1)
	s_and_not1_b32 vcc_lo, exec_lo, s2
	s_cbranch_vccnz .LBB7_1824
; %bb.1823:
	s_wait_xcnt 0x0
	v_and_or_b32 v8, 0x1ff, v7, v6
	v_lshrrev_b32_e32 v9, 8, v7
	v_bfe_u32 v11, v7, 20, 11
	s_delay_alu instid0(VALU_DEP_3) | instskip(NEXT) | instid1(VALU_DEP_2)
	v_cmp_ne_u32_e32 vcc_lo, 0, v8
	v_sub_nc_u32_e32 v13, 0x3f1, v11
	v_add_nc_u32_e32 v11, 0xfffffc10, v11
	v_cndmask_b32_e64 v8, 0, 1, vcc_lo
	s_delay_alu instid0(VALU_DEP_1) | instskip(NEXT) | instid1(VALU_DEP_4)
	v_and_or_b32 v8, 0xffe, v9, v8
	v_med3_i32 v9, v13, 0, 13
	s_delay_alu instid0(VALU_DEP_2) | instskip(NEXT) | instid1(VALU_DEP_1)
	v_or_b32_e32 v13, 0x1000, v8
	v_lshrrev_b32_e32 v15, v9, v13
	s_delay_alu instid0(VALU_DEP_1) | instskip(NEXT) | instid1(VALU_DEP_1)
	v_lshlrev_b32_e32 v9, v9, v15
	v_cmp_ne_u32_e32 vcc_lo, v9, v13
	v_lshl_or_b32 v13, v11, 12, v8
	v_cndmask_b32_e64 v9, 0, 1, vcc_lo
	v_cmp_gt_i32_e32 vcc_lo, 1, v11
	s_delay_alu instid0(VALU_DEP_2) | instskip(NEXT) | instid1(VALU_DEP_1)
	v_or_b32_e32 v9, v15, v9
	v_cndmask_b32_e32 v9, v13, v9, vcc_lo
	s_delay_alu instid0(VALU_DEP_1) | instskip(NEXT) | instid1(VALU_DEP_1)
	v_and_b32_e32 v13, 7, v9
	v_cmp_lt_i32_e32 vcc_lo, 5, v13
	v_cndmask_b32_e64 v15, 0, 1, vcc_lo
	v_cmp_eq_u32_e32 vcc_lo, 3, v13
	v_cndmask_b32_e64 v13, 0, 1, vcc_lo
	v_cmp_ne_u32_e32 vcc_lo, 0, v8
	s_delay_alu instid0(VALU_DEP_2) | instskip(SKIP_1) | instid1(VALU_DEP_1)
	v_dual_lshrrev_b32 v9, 2, v9 :: v_dual_bitop2_b32 v13, v13, v15 bitop3:0x54
	v_mov_b32_e32 v15, 0x7e00
	v_dual_cndmask_b32 v8, 0x7c00, v15 :: v_dual_add_nc_u32 v9, v9, v13
	v_cmp_gt_i32_e32 vcc_lo, 31, v11
	v_lshrrev_b32_e32 v13, 16, v7
	s_delay_alu instid0(VALU_DEP_3) | instskip(SKIP_1) | instid1(VALU_DEP_2)
	v_cndmask_b32_e32 v9, 0x7c00, v9, vcc_lo
	v_cmp_eq_u32_e32 vcc_lo, 0x40f, v11
	v_cndmask_b32_e32 v8, v9, v8, vcc_lo
	s_delay_alu instid0(VALU_DEP_4) | instskip(NEXT) | instid1(VALU_DEP_1)
	v_and_b32_e32 v9, 0x8000, v13
	v_bitop3_b32 v8, v9, 0xffff, v8 bitop3:0xc8
	global_store_b32 v[16:17], v8, off
.LBB7_1824:
	s_mov_b32 s2, 0
.LBB7_1825:
	s_delay_alu instid0(SALU_CYCLE_1)
	s_and_not1_b32 vcc_lo, exec_lo, s2
	s_cbranch_vccnz .LBB7_1834
; %bb.1826:
	s_cmp_lt_i32 s0, 6
	s_mov_b32 s2, -1
	s_cbranch_scc1 .LBB7_1832
; %bb.1827:
	s_cmp_gt_i32 s0, 6
	s_cbranch_scc0 .LBB7_1829
; %bb.1828:
	s_mov_b32 s2, 0
	global_store_b64 v[16:17], v[6:7], off
.LBB7_1829:
	s_and_not1_b32 vcc_lo, exec_lo, s2
	s_cbranch_vccnz .LBB7_1831
; %bb.1830:
	s_wait_xcnt 0x0
	v_cvt_f32_f64_e32 v8, v[6:7]
	global_store_b32 v[16:17], v8, off
.LBB7_1831:
	s_mov_b32 s2, 0
.LBB7_1832:
	s_delay_alu instid0(SALU_CYCLE_1)
	s_and_not1_b32 vcc_lo, exec_lo, s2
	s_cbranch_vccnz .LBB7_1834
; %bb.1833:
	s_wait_xcnt 0x0
	v_and_or_b32 v8, 0x1ff, v7, v6
	v_lshrrev_b32_e32 v9, 8, v7
	v_bfe_u32 v11, v7, 20, 11
	s_delay_alu instid0(VALU_DEP_3) | instskip(NEXT) | instid1(VALU_DEP_2)
	v_cmp_ne_u32_e32 vcc_lo, 0, v8
	v_sub_nc_u32_e32 v13, 0x3f1, v11
	v_add_nc_u32_e32 v11, 0xfffffc10, v11
	v_cndmask_b32_e64 v8, 0, 1, vcc_lo
	s_delay_alu instid0(VALU_DEP_1) | instskip(NEXT) | instid1(VALU_DEP_4)
	v_and_or_b32 v8, 0xffe, v9, v8
	v_med3_i32 v9, v13, 0, 13
	s_delay_alu instid0(VALU_DEP_2) | instskip(NEXT) | instid1(VALU_DEP_1)
	v_or_b32_e32 v13, 0x1000, v8
	v_lshrrev_b32_e32 v15, v9, v13
	s_delay_alu instid0(VALU_DEP_1) | instskip(NEXT) | instid1(VALU_DEP_1)
	v_lshlrev_b32_e32 v9, v9, v15
	v_cmp_ne_u32_e32 vcc_lo, v9, v13
	v_lshl_or_b32 v13, v11, 12, v8
	v_cndmask_b32_e64 v9, 0, 1, vcc_lo
	v_cmp_gt_i32_e32 vcc_lo, 1, v11
	s_delay_alu instid0(VALU_DEP_2) | instskip(NEXT) | instid1(VALU_DEP_1)
	v_or_b32_e32 v9, v15, v9
	v_cndmask_b32_e32 v9, v13, v9, vcc_lo
	s_delay_alu instid0(VALU_DEP_1) | instskip(NEXT) | instid1(VALU_DEP_1)
	v_and_b32_e32 v13, 7, v9
	v_cmp_lt_i32_e32 vcc_lo, 5, v13
	v_cndmask_b32_e64 v15, 0, 1, vcc_lo
	v_cmp_eq_u32_e32 vcc_lo, 3, v13
	v_cndmask_b32_e64 v13, 0, 1, vcc_lo
	v_cmp_ne_u32_e32 vcc_lo, 0, v8
	s_delay_alu instid0(VALU_DEP_2) | instskip(SKIP_1) | instid1(VALU_DEP_1)
	v_dual_lshrrev_b32 v9, 2, v9 :: v_dual_bitop2_b32 v13, v13, v15 bitop3:0x54
	v_mov_b32_e32 v15, 0x7e00
	v_dual_cndmask_b32 v8, 0x7c00, v15 :: v_dual_add_nc_u32 v9, v9, v13
	v_cmp_gt_i32_e32 vcc_lo, 31, v11
	s_delay_alu instid0(VALU_DEP_2) | instskip(SKIP_1) | instid1(VALU_DEP_2)
	v_cndmask_b32_e32 v9, 0x7c00, v9, vcc_lo
	v_cmp_eq_u32_e32 vcc_lo, 0x40f, v11
	v_dual_cndmask_b32 v8, v9, v8 :: v_dual_lshrrev_b32 v9, 16, v7
	s_delay_alu instid0(VALU_DEP_1)
	v_and_or_b32 v8, 0x8000, v9, v8
	global_store_b16 v[16:17], v8, off
.LBB7_1834:
	s_mov_b32 s2, 0
.LBB7_1835:
	s_delay_alu instid0(SALU_CYCLE_1)
	s_and_not1_b32 vcc_lo, exec_lo, s2
	s_cbranch_vccnz .LBB7_1851
; %bb.1836:
	s_cmp_lt_i32 s0, 2
	s_mov_b32 s2, -1
	s_cbranch_scc1 .LBB7_1846
; %bb.1837:
	s_cmp_lt_i32 s0, 3
	s_cbranch_scc1 .LBB7_1843
; %bb.1838:
	s_cmp_gt_i32 s0, 3
	s_cbranch_scc0 .LBB7_1840
; %bb.1839:
	s_wait_xcnt 0x0
	v_trunc_f64_e32 v[8:9], v[6:7]
	s_mov_b32 s2, 0
	s_delay_alu instid0(VALU_DEP_1) | instskip(NEXT) | instid1(VALU_DEP_1)
	v_ldexp_f64 v[18:19], v[8:9], 0xffffffe0
	v_floor_f64_e32 v[18:19], v[18:19]
	s_delay_alu instid0(VALU_DEP_1) | instskip(SKIP_1) | instid1(VALU_DEP_2)
	v_fmamk_f64 v[8:9], v[18:19], 0xc1f00000, v[8:9]
	v_cvt_i32_f64_e32 v19, v[18:19]
	v_cvt_u32_f64_e32 v18, v[8:9]
	global_store_b64 v[16:17], v[18:19], off
.LBB7_1840:
	s_and_not1_b32 vcc_lo, exec_lo, s2
	s_cbranch_vccnz .LBB7_1842
; %bb.1841:
	s_wait_xcnt 0x0
	v_cvt_i32_f64_e32 v8, v[6:7]
	global_store_b32 v[16:17], v8, off
.LBB7_1842:
	s_mov_b32 s2, 0
.LBB7_1843:
	s_delay_alu instid0(SALU_CYCLE_1)
	s_and_not1_b32 vcc_lo, exec_lo, s2
	s_cbranch_vccnz .LBB7_1845
; %bb.1844:
	s_wait_xcnt 0x0
	v_cvt_i32_f64_e32 v8, v[6:7]
	global_store_b16 v[16:17], v8, off
.LBB7_1845:
	s_mov_b32 s2, 0
.LBB7_1846:
	s_delay_alu instid0(SALU_CYCLE_1)
	s_and_not1_b32 vcc_lo, exec_lo, s2
	s_cbranch_vccnz .LBB7_1851
; %bb.1847:
	s_cmp_gt_i32 s0, 0
	s_mov_b32 s0, -1
	s_cbranch_scc0 .LBB7_1849
; %bb.1848:
	s_wait_xcnt 0x0
	v_cvt_i32_f64_e32 v8, v[6:7]
	s_mov_b32 s0, 0
	global_store_b8 v[16:17], v8, off
.LBB7_1849:
	s_and_not1_b32 vcc_lo, exec_lo, s0
	s_cbranch_vccnz .LBB7_1851
; %bb.1850:
	s_wait_xcnt 0x0
	v_trunc_f64_e32 v[6:7], v[6:7]
	s_delay_alu instid0(VALU_DEP_1) | instskip(NEXT) | instid1(VALU_DEP_1)
	v_ldexp_f64 v[8:9], v[6:7], 0xffffffe0
	v_floor_f64_e32 v[8:9], v[8:9]
	s_delay_alu instid0(VALU_DEP_1) | instskip(NEXT) | instid1(VALU_DEP_1)
	v_fmamk_f64 v[6:7], v[8:9], 0xc1f00000, v[6:7]
	v_cvt_u32_f64_e32 v6, v[6:7]
	global_store_b8 v[16:17], v6, off
.LBB7_1851:
	s_mov_b32 s6, -1
.LBB7_1852:
	s_delay_alu instid0(SALU_CYCLE_1)
	s_and_not1_b32 vcc_lo, exec_lo, s6
	s_cbranch_vccnz .LBB7_2167
; %bb.1853:
	v_mov_b32_e32 v15, 0
	s_and_b32 s2, 0xffff, s1
	s_delay_alu instid0(SALU_CYCLE_1) | instskip(SKIP_1) | instid1(VALU_DEP_1)
	s_cmp_lt_i32 s2, 11
	s_wait_xcnt 0x0
	v_add_nc_u64_e32 v[8:9], s[4:5], v[14:15]
	s_cbranch_scc1 .LBB7_1931
; %bb.1854:
	s_mov_b32 s7, -1
	s_mov_b32 s3, 0
	s_cmp_gt_i32 s2, 25
	s_mov_b32 s6, 0
	s_mov_b32 s0, 0
	s_cbranch_scc0 .LBB7_1887
; %bb.1855:
	s_cmp_gt_i32 s2, 28
	s_cbranch_scc0 .LBB7_1870
; %bb.1856:
	s_cmp_gt_i32 s2, 43
	;; [unrolled: 3-line block ×3, first 2 shown]
	s_cbranch_scc0 .LBB7_1860
; %bb.1858:
	s_mov_b32 s0, -1
	s_mov_b32 s7, 0
	s_cmp_eq_u32 s2, 46
	s_cbranch_scc0 .LBB7_1860
; %bb.1859:
	v_cvt_f32_f64_e32 v6, v[4:5]
	s_mov_b32 s0, 0
	s_mov_b32 s6, -1
	s_delay_alu instid0(VALU_DEP_1) | instskip(SKIP_1) | instid1(VALU_DEP_2)
	v_bfe_u32 v7, v6, 16, 1
	v_cmp_o_f32_e32 vcc_lo, v6, v6
	v_add3_u32 v7, v6, v7, 0x7fff
	s_delay_alu instid0(VALU_DEP_1) | instskip(NEXT) | instid1(VALU_DEP_1)
	v_lshrrev_b32_e32 v7, 16, v7
	v_cndmask_b32_e32 v6, 0x7fc0, v7, vcc_lo
	global_store_b32 v[8:9], v6, off
.LBB7_1860:
	s_and_b32 vcc_lo, exec_lo, s7
	s_cbranch_vccz .LBB7_1865
; %bb.1861:
	s_cmp_eq_u32 s2, 44
	s_mov_b32 s0, -1
	s_cbranch_scc0 .LBB7_1865
; %bb.1862:
	s_wait_xcnt 0x0
	v_cvt_f32_f64_e32 v6, v[4:5]
	v_mov_b32_e32 v7, 0xff
	s_mov_b32 s6, exec_lo
	s_delay_alu instid0(VALU_DEP_2) | instskip(NEXT) | instid1(VALU_DEP_1)
	v_bfe_u32 v11, v6, 23, 8
	v_cmpx_ne_u32_e32 0xff, v11
	s_cbranch_execz .LBB7_1864
; %bb.1863:
	v_and_b32_e32 v7, 0x400000, v6
	v_and_or_b32 v11, 0x3fffff, v6, v11
	v_lshrrev_b32_e32 v6, 23, v6
	s_delay_alu instid0(VALU_DEP_3) | instskip(NEXT) | instid1(VALU_DEP_3)
	v_cmp_ne_u32_e32 vcc_lo, 0, v7
	v_cmp_ne_u32_e64 s0, 0, v11
	s_and_b32 s0, vcc_lo, s0
	s_delay_alu instid0(SALU_CYCLE_1) | instskip(NEXT) | instid1(VALU_DEP_1)
	v_cndmask_b32_e64 v7, 0, 1, s0
	v_add_nc_u32_e32 v7, v6, v7
.LBB7_1864:
	s_or_b32 exec_lo, exec_lo, s6
	s_mov_b32 s0, 0
	s_mov_b32 s6, -1
	global_store_b8 v[8:9], v7, off
.LBB7_1865:
	s_mov_b32 s7, 0
.LBB7_1866:
	s_delay_alu instid0(SALU_CYCLE_1)
	s_and_b32 vcc_lo, exec_lo, s7
	s_cbranch_vccz .LBB7_1869
; %bb.1867:
	s_cmp_eq_u32 s2, 29
	s_mov_b32 s0, -1
	s_cbranch_scc0 .LBB7_1869
; %bb.1868:
	s_wait_xcnt 0x0
	v_trunc_f64_e32 v[6:7], v[4:5]
	s_mov_b32 s0, 0
	s_mov_b32 s6, -1
	s_delay_alu instid0(VALU_DEP_1) | instskip(NEXT) | instid1(VALU_DEP_1)
	v_ldexp_f64 v[14:15], v[6:7], 0xffffffe0
	v_floor_f64_e32 v[14:15], v[14:15]
	s_delay_alu instid0(VALU_DEP_1) | instskip(SKIP_1) | instid1(VALU_DEP_2)
	v_fmamk_f64 v[6:7], v[14:15], 0xc1f00000, v[6:7]
	v_cvt_u32_f64_e32 v15, v[14:15]
	v_cvt_u32_f64_e32 v14, v[6:7]
	global_store_b64 v[8:9], v[14:15], off
.LBB7_1869:
	s_mov_b32 s7, 0
.LBB7_1870:
	s_delay_alu instid0(SALU_CYCLE_1)
	s_and_b32 vcc_lo, exec_lo, s7
	s_cbranch_vccz .LBB7_1886
; %bb.1871:
	s_cmp_lt_i32 s2, 27
	s_mov_b32 s6, -1
	s_cbranch_scc1 .LBB7_1877
; %bb.1872:
	s_cmp_gt_i32 s2, 27
	s_cbranch_scc0 .LBB7_1874
; %bb.1873:
	s_wait_xcnt 0x0
	v_cvt_u32_f64_e32 v6, v[4:5]
	s_mov_b32 s6, 0
	global_store_b32 v[8:9], v6, off
.LBB7_1874:
	s_and_not1_b32 vcc_lo, exec_lo, s6
	s_cbranch_vccnz .LBB7_1876
; %bb.1875:
	s_wait_xcnt 0x0
	v_cvt_u32_f64_e32 v6, v[4:5]
	global_store_b16 v[8:9], v6, off
.LBB7_1876:
	s_mov_b32 s6, 0
.LBB7_1877:
	s_delay_alu instid0(SALU_CYCLE_1)
	s_and_not1_b32 vcc_lo, exec_lo, s6
	s_cbranch_vccnz .LBB7_1885
; %bb.1878:
	s_wait_xcnt 0x0
	v_cvt_f32_f64_e32 v6, v[4:5]
	v_mov_b32_e32 v11, 0x80
	s_mov_b32 s6, exec_lo
	s_delay_alu instid0(VALU_DEP_2) | instskip(NEXT) | instid1(VALU_DEP_1)
	v_and_b32_e32 v7, 0x7fffffff, v6
	v_cmpx_gt_u32_e32 0x43800000, v7
	s_cbranch_execz .LBB7_1884
; %bb.1879:
	v_cmp_lt_u32_e32 vcc_lo, 0x3bffffff, v7
	s_mov_b32 s7, 0
                                        ; implicit-def: $vgpr7
	s_and_saveexec_b32 s11, vcc_lo
	s_delay_alu instid0(SALU_CYCLE_1)
	s_xor_b32 s11, exec_lo, s11
	s_cbranch_execz .LBB7_2175
; %bb.1880:
	v_bfe_u32 v7, v6, 20, 1
	s_mov_b32 s7, exec_lo
	s_delay_alu instid0(VALU_DEP_1) | instskip(NEXT) | instid1(VALU_DEP_1)
	v_add3_u32 v7, v6, v7, 0x487ffff
	v_lshrrev_b32_e32 v7, 20, v7
	s_and_not1_saveexec_b32 s11, s11
	s_cbranch_execnz .LBB7_2176
.LBB7_1881:
	s_or_b32 exec_lo, exec_lo, s11
	v_mov_b32_e32 v11, 0
	s_and_saveexec_b32 s11, s7
.LBB7_1882:
	v_lshrrev_b32_e32 v6, 24, v6
	s_delay_alu instid0(VALU_DEP_1)
	v_and_or_b32 v11, 0x80, v6, v7
.LBB7_1883:
	s_or_b32 exec_lo, exec_lo, s11
.LBB7_1884:
	s_delay_alu instid0(SALU_CYCLE_1)
	s_or_b32 exec_lo, exec_lo, s6
	global_store_b8 v[8:9], v11, off
.LBB7_1885:
	s_mov_b32 s6, -1
.LBB7_1886:
	s_mov_b32 s7, 0
.LBB7_1887:
	s_delay_alu instid0(SALU_CYCLE_1)
	s_and_b32 vcc_lo, exec_lo, s7
	s_cbranch_vccz .LBB7_1927
; %bb.1888:
	s_cmp_gt_i32 s2, 22
	s_mov_b32 s3, -1
	s_cbranch_scc0 .LBB7_1920
; %bb.1889:
	s_cmp_lt_i32 s2, 24
	s_cbranch_scc1 .LBB7_1909
; %bb.1890:
	s_cmp_gt_i32 s2, 24
	s_cbranch_scc0 .LBB7_1898
; %bb.1891:
	s_wait_xcnt 0x0
	v_cvt_f32_f64_e32 v6, v[4:5]
	v_mov_b32_e32 v11, 0x80
	s_mov_b32 s3, exec_lo
	s_delay_alu instid0(VALU_DEP_2) | instskip(NEXT) | instid1(VALU_DEP_1)
	v_and_b32_e32 v7, 0x7fffffff, v6
	v_cmpx_gt_u32_e32 0x47800000, v7
	s_cbranch_execz .LBB7_1897
; %bb.1892:
	v_cmp_lt_u32_e32 vcc_lo, 0x37ffffff, v7
	s_mov_b32 s6, 0
                                        ; implicit-def: $vgpr7
	s_and_saveexec_b32 s7, vcc_lo
	s_delay_alu instid0(SALU_CYCLE_1)
	s_xor_b32 s7, exec_lo, s7
	s_cbranch_execz .LBB7_2178
; %bb.1893:
	v_bfe_u32 v7, v6, 21, 1
	s_mov_b32 s6, exec_lo
	s_delay_alu instid0(VALU_DEP_1) | instskip(NEXT) | instid1(VALU_DEP_1)
	v_add3_u32 v7, v6, v7, 0x88fffff
	v_lshrrev_b32_e32 v7, 21, v7
	s_and_not1_saveexec_b32 s7, s7
	s_cbranch_execnz .LBB7_2179
.LBB7_1894:
	s_or_b32 exec_lo, exec_lo, s7
	v_mov_b32_e32 v11, 0
	s_and_saveexec_b32 s7, s6
.LBB7_1895:
	v_lshrrev_b32_e32 v6, 24, v6
	s_delay_alu instid0(VALU_DEP_1)
	v_and_or_b32 v11, 0x80, v6, v7
.LBB7_1896:
	s_or_b32 exec_lo, exec_lo, s7
.LBB7_1897:
	s_delay_alu instid0(SALU_CYCLE_1)
	s_or_b32 exec_lo, exec_lo, s3
	s_mov_b32 s3, 0
	global_store_b8 v[8:9], v11, off
.LBB7_1898:
	s_and_b32 vcc_lo, exec_lo, s3
	s_cbranch_vccz .LBB7_1908
; %bb.1899:
	s_wait_xcnt 0x0
	v_cvt_f32_f64_e32 v6, v[4:5]
	s_mov_b32 s3, exec_lo
                                        ; implicit-def: $vgpr7
	s_delay_alu instid0(VALU_DEP_1) | instskip(NEXT) | instid1(VALU_DEP_1)
	v_and_b32_e32 v11, 0x7fffffff, v6
	v_cmpx_gt_u32_e32 0x43f00000, v11
	s_xor_b32 s3, exec_lo, s3
	s_cbranch_execz .LBB7_1905
; %bb.1900:
	s_mov_b32 s6, exec_lo
                                        ; implicit-def: $vgpr7
	v_cmpx_lt_u32_e32 0x3c7fffff, v11
	s_xor_b32 s6, exec_lo, s6
; %bb.1901:
	v_bfe_u32 v7, v6, 20, 1
	s_delay_alu instid0(VALU_DEP_1) | instskip(NEXT) | instid1(VALU_DEP_1)
	v_add3_u32 v7, v6, v7, 0x407ffff
	v_and_b32_e32 v11, 0xff00000, v7
	v_lshrrev_b32_e32 v7, 20, v7
	s_delay_alu instid0(VALU_DEP_2) | instskip(NEXT) | instid1(VALU_DEP_2)
	v_cmp_ne_u32_e32 vcc_lo, 0x7f00000, v11
	v_cndmask_b32_e32 v7, 0x7e, v7, vcc_lo
; %bb.1902:
	s_and_not1_saveexec_b32 s6, s6
; %bb.1903:
	v_add_f32_e64 v7, 0x46800000, |v6|
; %bb.1904:
	s_or_b32 exec_lo, exec_lo, s6
                                        ; implicit-def: $vgpr11
.LBB7_1905:
	s_and_not1_saveexec_b32 s3, s3
; %bb.1906:
	v_mov_b32_e32 v7, 0x7f
	v_cmp_lt_u32_e32 vcc_lo, 0x7f800000, v11
	s_delay_alu instid0(VALU_DEP_2)
	v_cndmask_b32_e32 v7, 0x7e, v7, vcc_lo
; %bb.1907:
	s_or_b32 exec_lo, exec_lo, s3
	v_lshrrev_b32_e32 v6, 24, v6
	s_delay_alu instid0(VALU_DEP_1)
	v_and_or_b32 v6, 0x80, v6, v7
	global_store_b8 v[8:9], v6, off
.LBB7_1908:
	s_mov_b32 s3, 0
.LBB7_1909:
	s_delay_alu instid0(SALU_CYCLE_1)
	s_and_not1_b32 vcc_lo, exec_lo, s3
	s_cbranch_vccnz .LBB7_1919
; %bb.1910:
	s_wait_xcnt 0x0
	v_cvt_f32_f64_e32 v6, v[4:5]
	s_mov_b32 s3, exec_lo
                                        ; implicit-def: $vgpr7
	s_delay_alu instid0(VALU_DEP_1) | instskip(NEXT) | instid1(VALU_DEP_1)
	v_and_b32_e32 v11, 0x7fffffff, v6
	v_cmpx_gt_u32_e32 0x47800000, v11
	s_xor_b32 s3, exec_lo, s3
	s_cbranch_execz .LBB7_1916
; %bb.1911:
	s_mov_b32 s6, exec_lo
                                        ; implicit-def: $vgpr7
	v_cmpx_lt_u32_e32 0x387fffff, v11
	s_xor_b32 s6, exec_lo, s6
; %bb.1912:
	v_bfe_u32 v7, v6, 21, 1
	s_delay_alu instid0(VALU_DEP_1) | instskip(NEXT) | instid1(VALU_DEP_1)
	v_add3_u32 v7, v6, v7, 0x80fffff
	v_lshrrev_b32_e32 v7, 21, v7
; %bb.1913:
	s_and_not1_saveexec_b32 s6, s6
; %bb.1914:
	v_add_f32_e64 v7, 0x43000000, |v6|
; %bb.1915:
	s_or_b32 exec_lo, exec_lo, s6
                                        ; implicit-def: $vgpr11
.LBB7_1916:
	s_and_not1_saveexec_b32 s3, s3
; %bb.1917:
	v_mov_b32_e32 v7, 0x7f
	v_cmp_lt_u32_e32 vcc_lo, 0x7f800000, v11
	s_delay_alu instid0(VALU_DEP_2)
	v_cndmask_b32_e32 v7, 0x7c, v7, vcc_lo
; %bb.1918:
	s_or_b32 exec_lo, exec_lo, s3
	v_lshrrev_b32_e32 v6, 24, v6
	s_delay_alu instid0(VALU_DEP_1)
	v_and_or_b32 v6, 0x80, v6, v7
	global_store_b8 v[8:9], v6, off
.LBB7_1919:
	s_mov_b32 s3, 0
	s_mov_b32 s6, -1
.LBB7_1920:
	s_and_not1_b32 vcc_lo, exec_lo, s3
	s_mov_b32 s3, 0
	s_cbranch_vccnz .LBB7_1927
; %bb.1921:
	s_cmp_gt_i32 s2, 14
	s_mov_b32 s3, -1
	s_cbranch_scc0 .LBB7_1925
; %bb.1922:
	s_cmp_eq_u32 s2, 15
	s_mov_b32 s0, -1
	s_cbranch_scc0 .LBB7_1924
; %bb.1923:
	s_wait_xcnt 0x0
	v_cvt_f32_f64_e32 v6, v[4:5]
	s_mov_b32 s0, 0
	s_mov_b32 s6, -1
	s_delay_alu instid0(VALU_DEP_1) | instskip(SKIP_1) | instid1(VALU_DEP_2)
	v_bfe_u32 v7, v6, 16, 1
	v_cmp_o_f32_e32 vcc_lo, v6, v6
	v_add3_u32 v7, v6, v7, 0x7fff
	s_delay_alu instid0(VALU_DEP_1) | instskip(NEXT) | instid1(VALU_DEP_1)
	v_lshrrev_b32_e32 v7, 16, v7
	v_cndmask_b32_e32 v6, 0x7fc0, v7, vcc_lo
	global_store_b16 v[8:9], v6, off
.LBB7_1924:
	s_mov_b32 s3, 0
.LBB7_1925:
	s_delay_alu instid0(SALU_CYCLE_1)
	s_and_b32 vcc_lo, exec_lo, s3
	s_mov_b32 s3, 0
	s_cbranch_vccz .LBB7_1927
; %bb.1926:
	s_cmp_lg_u32 s2, 11
	s_mov_b32 s3, -1
	s_cselect_b32 s0, -1, 0
.LBB7_1927:
	s_delay_alu instid0(SALU_CYCLE_1)
	s_and_b32 vcc_lo, exec_lo, s0
	s_cbranch_vccnz .LBB7_2177
; %bb.1928:
	s_and_not1_b32 vcc_lo, exec_lo, s3
	s_cbranch_vccnz .LBB7_1930
.LBB7_1929:
	v_cmp_neq_f64_e32 vcc_lo, 0, v[4:5]
	s_mov_b32 s6, -1
	s_wait_xcnt 0x0
	v_cndmask_b32_e64 v6, 0, 1, vcc_lo
	global_store_b8 v[8:9], v6, off
.LBB7_1930:
	s_mov_b32 s0, 0
	s_branch .LBB7_1932
.LBB7_1931:
	s_mov_b32 s0, -1
	s_mov_b32 s6, 0
.LBB7_1932:
	s_and_b32 vcc_lo, exec_lo, s0
	s_cbranch_vccz .LBB7_1971
; %bb.1933:
	s_cmp_lt_i32 s2, 5
	s_mov_b32 s0, -1
	s_cbranch_scc1 .LBB7_1954
; %bb.1934:
	s_cmp_lt_i32 s2, 8
	s_cbranch_scc1 .LBB7_1944
; %bb.1935:
	s_cmp_lt_i32 s2, 9
	s_cbranch_scc1 .LBB7_1941
; %bb.1936:
	s_cmp_gt_i32 s2, 9
	s_cbranch_scc0 .LBB7_1938
; %bb.1937:
	s_wait_xcnt 0x0
	v_mov_b32_e32 v6, 0
	s_mov_b32 s0, 0
	s_delay_alu instid0(VALU_DEP_1)
	v_mov_b32_e32 v7, v6
	global_store_b128 v[8:9], v[4:7], off
.LBB7_1938:
	s_and_not1_b32 vcc_lo, exec_lo, s0
	s_cbranch_vccnz .LBB7_1940
; %bb.1939:
	s_wait_xcnt 0x0
	v_cvt_f32_f64_e32 v6, v[4:5]
	v_mov_b32_e32 v7, 0
	global_store_b64 v[8:9], v[6:7], off
.LBB7_1940:
	s_mov_b32 s0, 0
.LBB7_1941:
	s_delay_alu instid0(SALU_CYCLE_1)
	s_and_not1_b32 vcc_lo, exec_lo, s0
	s_cbranch_vccnz .LBB7_1943
; %bb.1942:
	s_wait_xcnt 0x0
	v_and_or_b32 v6, 0x1ff, v5, v4
	v_lshrrev_b32_e32 v7, 8, v5
	v_bfe_u32 v11, v5, 20, 11
	s_delay_alu instid0(VALU_DEP_3) | instskip(NEXT) | instid1(VALU_DEP_2)
	v_cmp_ne_u32_e32 vcc_lo, 0, v6
	v_sub_nc_u32_e32 v13, 0x3f1, v11
	v_add_nc_u32_e32 v11, 0xfffffc10, v11
	v_cndmask_b32_e64 v6, 0, 1, vcc_lo
	s_delay_alu instid0(VALU_DEP_1) | instskip(NEXT) | instid1(VALU_DEP_4)
	v_and_or_b32 v6, 0xffe, v7, v6
	v_med3_i32 v7, v13, 0, 13
	s_delay_alu instid0(VALU_DEP_2) | instskip(NEXT) | instid1(VALU_DEP_1)
	v_or_b32_e32 v13, 0x1000, v6
	v_lshrrev_b32_e32 v14, v7, v13
	s_delay_alu instid0(VALU_DEP_1) | instskip(NEXT) | instid1(VALU_DEP_1)
	v_lshlrev_b32_e32 v7, v7, v14
	v_cmp_ne_u32_e32 vcc_lo, v7, v13
	v_lshl_or_b32 v13, v11, 12, v6
	v_cndmask_b32_e64 v7, 0, 1, vcc_lo
	v_cmp_gt_i32_e32 vcc_lo, 1, v11
	s_delay_alu instid0(VALU_DEP_2) | instskip(NEXT) | instid1(VALU_DEP_1)
	v_or_b32_e32 v7, v14, v7
	v_cndmask_b32_e32 v7, v13, v7, vcc_lo
	s_delay_alu instid0(VALU_DEP_1) | instskip(NEXT) | instid1(VALU_DEP_1)
	v_dual_lshrrev_b32 v7, 2, v7 :: v_dual_bitop2_b32 v13, 7, v7 bitop3:0x40
	v_cmp_lt_i32_e32 vcc_lo, 5, v13
	v_cndmask_b32_e64 v14, 0, 1, vcc_lo
	v_cmp_eq_u32_e32 vcc_lo, 3, v13
	v_cndmask_b32_e64 v13, 0, 1, vcc_lo
	v_cmp_ne_u32_e32 vcc_lo, 0, v6
	s_delay_alu instid0(VALU_DEP_2) | instskip(NEXT) | instid1(VALU_DEP_1)
	v_or_b32_e32 v13, v13, v14
	v_dual_mov_b32 v14, 0x7e00 :: v_dual_add_nc_u32 v7, v7, v13
	s_delay_alu instid0(VALU_DEP_1) | instskip(SKIP_2) | instid1(VALU_DEP_4)
	v_cndmask_b32_e32 v6, 0x7c00, v14, vcc_lo
	v_cmp_gt_i32_e32 vcc_lo, 31, v11
	v_lshrrev_b32_e32 v13, 16, v5
	v_cndmask_b32_e32 v7, 0x7c00, v7, vcc_lo
	v_cmp_eq_u32_e32 vcc_lo, 0x40f, v11
	s_delay_alu instid0(VALU_DEP_2) | instskip(NEXT) | instid1(VALU_DEP_4)
	v_cndmask_b32_e32 v6, v7, v6, vcc_lo
	v_and_b32_e32 v7, 0x8000, v13
	s_delay_alu instid0(VALU_DEP_1)
	v_bitop3_b32 v6, v7, 0xffff, v6 bitop3:0xc8
	global_store_b32 v[8:9], v6, off
.LBB7_1943:
	s_mov_b32 s0, 0
.LBB7_1944:
	s_delay_alu instid0(SALU_CYCLE_1)
	s_and_not1_b32 vcc_lo, exec_lo, s0
	s_cbranch_vccnz .LBB7_1953
; %bb.1945:
	s_cmp_lt_i32 s2, 6
	s_mov_b32 s0, -1
	s_cbranch_scc1 .LBB7_1951
; %bb.1946:
	s_cmp_gt_i32 s2, 6
	s_cbranch_scc0 .LBB7_1948
; %bb.1947:
	s_mov_b32 s0, 0
	global_store_b64 v[8:9], v[4:5], off
.LBB7_1948:
	s_and_not1_b32 vcc_lo, exec_lo, s0
	s_cbranch_vccnz .LBB7_1950
; %bb.1949:
	s_wait_xcnt 0x0
	v_cvt_f32_f64_e32 v6, v[4:5]
	global_store_b32 v[8:9], v6, off
.LBB7_1950:
	s_mov_b32 s0, 0
.LBB7_1951:
	s_delay_alu instid0(SALU_CYCLE_1)
	s_and_not1_b32 vcc_lo, exec_lo, s0
	s_cbranch_vccnz .LBB7_1953
; %bb.1952:
	s_wait_xcnt 0x0
	v_and_or_b32 v6, 0x1ff, v5, v4
	v_lshrrev_b32_e32 v7, 8, v5
	v_bfe_u32 v11, v5, 20, 11
	s_delay_alu instid0(VALU_DEP_3) | instskip(NEXT) | instid1(VALU_DEP_2)
	v_cmp_ne_u32_e32 vcc_lo, 0, v6
	v_sub_nc_u32_e32 v13, 0x3f1, v11
	v_add_nc_u32_e32 v11, 0xfffffc10, v11
	v_cndmask_b32_e64 v6, 0, 1, vcc_lo
	s_delay_alu instid0(VALU_DEP_1) | instskip(NEXT) | instid1(VALU_DEP_4)
	v_and_or_b32 v6, 0xffe, v7, v6
	v_med3_i32 v7, v13, 0, 13
	s_delay_alu instid0(VALU_DEP_2) | instskip(NEXT) | instid1(VALU_DEP_1)
	v_or_b32_e32 v13, 0x1000, v6
	v_lshrrev_b32_e32 v14, v7, v13
	s_delay_alu instid0(VALU_DEP_1) | instskip(NEXT) | instid1(VALU_DEP_1)
	v_lshlrev_b32_e32 v7, v7, v14
	v_cmp_ne_u32_e32 vcc_lo, v7, v13
	v_lshl_or_b32 v13, v11, 12, v6
	v_cndmask_b32_e64 v7, 0, 1, vcc_lo
	v_cmp_gt_i32_e32 vcc_lo, 1, v11
	s_delay_alu instid0(VALU_DEP_2) | instskip(NEXT) | instid1(VALU_DEP_1)
	v_or_b32_e32 v7, v14, v7
	v_cndmask_b32_e32 v7, v13, v7, vcc_lo
	s_delay_alu instid0(VALU_DEP_1) | instskip(NEXT) | instid1(VALU_DEP_1)
	v_dual_lshrrev_b32 v7, 2, v7 :: v_dual_bitop2_b32 v13, 7, v7 bitop3:0x40
	v_cmp_lt_i32_e32 vcc_lo, 5, v13
	v_cndmask_b32_e64 v14, 0, 1, vcc_lo
	v_cmp_eq_u32_e32 vcc_lo, 3, v13
	v_cndmask_b32_e64 v13, 0, 1, vcc_lo
	v_cmp_ne_u32_e32 vcc_lo, 0, v6
	s_delay_alu instid0(VALU_DEP_2) | instskip(NEXT) | instid1(VALU_DEP_1)
	v_or_b32_e32 v13, v13, v14
	v_dual_mov_b32 v14, 0x7e00 :: v_dual_add_nc_u32 v7, v7, v13
	s_delay_alu instid0(VALU_DEP_1) | instskip(SKIP_1) | instid1(VALU_DEP_3)
	v_cndmask_b32_e32 v6, 0x7c00, v14, vcc_lo
	v_cmp_gt_i32_e32 vcc_lo, 31, v11
	v_cndmask_b32_e32 v7, 0x7c00, v7, vcc_lo
	v_cmp_eq_u32_e32 vcc_lo, 0x40f, v11
	s_delay_alu instid0(VALU_DEP_2) | instskip(NEXT) | instid1(VALU_DEP_1)
	v_dual_cndmask_b32 v6, v7, v6 :: v_dual_lshrrev_b32 v7, 16, v5
	v_and_or_b32 v6, 0x8000, v7, v6
	global_store_b16 v[8:9], v6, off
.LBB7_1953:
	s_mov_b32 s0, 0
.LBB7_1954:
	s_delay_alu instid0(SALU_CYCLE_1)
	s_and_not1_b32 vcc_lo, exec_lo, s0
	s_cbranch_vccnz .LBB7_1970
; %bb.1955:
	s_cmp_lt_i32 s2, 2
	s_mov_b32 s0, -1
	s_cbranch_scc1 .LBB7_1965
; %bb.1956:
	s_cmp_lt_i32 s2, 3
	s_cbranch_scc1 .LBB7_1962
; %bb.1957:
	s_cmp_gt_i32 s2, 3
	s_cbranch_scc0 .LBB7_1959
; %bb.1958:
	s_wait_xcnt 0x0
	v_trunc_f64_e32 v[6:7], v[4:5]
	s_mov_b32 s0, 0
	s_delay_alu instid0(VALU_DEP_1) | instskip(NEXT) | instid1(VALU_DEP_1)
	v_ldexp_f64 v[14:15], v[6:7], 0xffffffe0
	v_floor_f64_e32 v[14:15], v[14:15]
	s_delay_alu instid0(VALU_DEP_1) | instskip(SKIP_1) | instid1(VALU_DEP_2)
	v_fmamk_f64 v[6:7], v[14:15], 0xc1f00000, v[6:7]
	v_cvt_i32_f64_e32 v15, v[14:15]
	v_cvt_u32_f64_e32 v14, v[6:7]
	global_store_b64 v[8:9], v[14:15], off
.LBB7_1959:
	s_and_not1_b32 vcc_lo, exec_lo, s0
	s_cbranch_vccnz .LBB7_1961
; %bb.1960:
	s_wait_xcnt 0x0
	v_cvt_i32_f64_e32 v6, v[4:5]
	global_store_b32 v[8:9], v6, off
.LBB7_1961:
	s_mov_b32 s0, 0
.LBB7_1962:
	s_delay_alu instid0(SALU_CYCLE_1)
	s_and_not1_b32 vcc_lo, exec_lo, s0
	s_cbranch_vccnz .LBB7_1964
; %bb.1963:
	s_wait_xcnt 0x0
	v_cvt_i32_f64_e32 v6, v[4:5]
	global_store_b16 v[8:9], v6, off
.LBB7_1964:
	s_mov_b32 s0, 0
.LBB7_1965:
	s_delay_alu instid0(SALU_CYCLE_1)
	s_and_not1_b32 vcc_lo, exec_lo, s0
	s_cbranch_vccnz .LBB7_1970
; %bb.1966:
	s_cmp_gt_i32 s2, 0
	s_mov_b32 s0, -1
	s_cbranch_scc0 .LBB7_1968
; %bb.1967:
	s_wait_xcnt 0x0
	v_cvt_i32_f64_e32 v6, v[4:5]
	s_mov_b32 s0, 0
	global_store_b8 v[8:9], v6, off
.LBB7_1968:
	s_and_not1_b32 vcc_lo, exec_lo, s0
	s_cbranch_vccnz .LBB7_1970
; %bb.1969:
	s_wait_xcnt 0x0
	v_trunc_f64_e32 v[4:5], v[4:5]
	s_delay_alu instid0(VALU_DEP_1) | instskip(NEXT) | instid1(VALU_DEP_1)
	v_ldexp_f64 v[6:7], v[4:5], 0xffffffe0
	v_floor_f64_e32 v[6:7], v[6:7]
	s_delay_alu instid0(VALU_DEP_1) | instskip(NEXT) | instid1(VALU_DEP_1)
	v_fmamk_f64 v[4:5], v[6:7], 0xc1f00000, v[4:5]
	v_cvt_u32_f64_e32 v4, v[4:5]
	global_store_b8 v[8:9], v4, off
.LBB7_1970:
	s_mov_b32 s6, -1
.LBB7_1971:
	s_delay_alu instid0(SALU_CYCLE_1)
	s_and_not1_b32 vcc_lo, exec_lo, s6
	s_cbranch_vccnz .LBB7_2167
; %bb.1972:
	v_mov_b32_e32 v13, 0
	s_cmp_lt_i32 s2, 11
	s_wait_xcnt 0x0
	s_delay_alu instid0(VALU_DEP_1)
	v_add_nc_u64_e32 v[6:7], s[4:5], v[12:13]
	s_cbranch_scc1 .LBB7_2050
; %bb.1973:
	s_mov_b32 s7, -1
	s_mov_b32 s3, 0
	s_cmp_gt_i32 s2, 25
	s_mov_b32 s6, 0
	s_mov_b32 s0, 0
	s_cbranch_scc0 .LBB7_2006
; %bb.1974:
	s_cmp_gt_i32 s2, 28
	s_cbranch_scc0 .LBB7_1989
; %bb.1975:
	s_cmp_gt_i32 s2, 43
	;; [unrolled: 3-line block ×3, first 2 shown]
	s_cbranch_scc0 .LBB7_1979
; %bb.1977:
	s_mov_b32 s0, -1
	s_mov_b32 s7, 0
	s_cmp_eq_u32 s2, 46
	s_cbranch_scc0 .LBB7_1979
; %bb.1978:
	v_cvt_f32_f64_e32 v4, v[2:3]
	s_mov_b32 s0, 0
	s_mov_b32 s6, -1
	s_delay_alu instid0(VALU_DEP_1) | instskip(SKIP_1) | instid1(VALU_DEP_2)
	v_bfe_u32 v5, v4, 16, 1
	v_cmp_o_f32_e32 vcc_lo, v4, v4
	v_add3_u32 v5, v4, v5, 0x7fff
	s_delay_alu instid0(VALU_DEP_1) | instskip(NEXT) | instid1(VALU_DEP_1)
	v_lshrrev_b32_e32 v5, 16, v5
	v_cndmask_b32_e32 v4, 0x7fc0, v5, vcc_lo
	global_store_b32 v[6:7], v4, off
.LBB7_1979:
	s_and_b32 vcc_lo, exec_lo, s7
	s_cbranch_vccz .LBB7_1984
; %bb.1980:
	s_cmp_eq_u32 s2, 44
	s_mov_b32 s0, -1
	s_cbranch_scc0 .LBB7_1984
; %bb.1981:
	s_wait_xcnt 0x0
	v_cvt_f32_f64_e32 v4, v[2:3]
	v_mov_b32_e32 v5, 0xff
	s_mov_b32 s6, exec_lo
	s_delay_alu instid0(VALU_DEP_2) | instskip(NEXT) | instid1(VALU_DEP_1)
	v_bfe_u32 v8, v4, 23, 8
	v_cmpx_ne_u32_e32 0xff, v8
	s_cbranch_execz .LBB7_1983
; %bb.1982:
	v_and_b32_e32 v5, 0x400000, v4
	v_and_or_b32 v8, 0x3fffff, v4, v8
	v_lshrrev_b32_e32 v4, 23, v4
	s_delay_alu instid0(VALU_DEP_3) | instskip(NEXT) | instid1(VALU_DEP_3)
	v_cmp_ne_u32_e32 vcc_lo, 0, v5
	v_cmp_ne_u32_e64 s0, 0, v8
	s_and_b32 s0, vcc_lo, s0
	s_delay_alu instid0(SALU_CYCLE_1) | instskip(NEXT) | instid1(VALU_DEP_1)
	v_cndmask_b32_e64 v5, 0, 1, s0
	v_add_nc_u32_e32 v5, v4, v5
.LBB7_1983:
	s_or_b32 exec_lo, exec_lo, s6
	s_mov_b32 s0, 0
	s_mov_b32 s6, -1
	global_store_b8 v[6:7], v5, off
.LBB7_1984:
	s_mov_b32 s7, 0
.LBB7_1985:
	s_delay_alu instid0(SALU_CYCLE_1)
	s_and_b32 vcc_lo, exec_lo, s7
	s_cbranch_vccz .LBB7_1988
; %bb.1986:
	s_cmp_eq_u32 s2, 29
	s_mov_b32 s0, -1
	s_cbranch_scc0 .LBB7_1988
; %bb.1987:
	s_wait_xcnt 0x0
	v_trunc_f64_e32 v[4:5], v[2:3]
	s_mov_b32 s0, 0
	s_mov_b32 s6, -1
	s_delay_alu instid0(VALU_DEP_1) | instskip(NEXT) | instid1(VALU_DEP_1)
	v_ldexp_f64 v[8:9], v[4:5], 0xffffffe0
	v_floor_f64_e32 v[8:9], v[8:9]
	s_delay_alu instid0(VALU_DEP_1) | instskip(SKIP_1) | instid1(VALU_DEP_2)
	v_fmamk_f64 v[4:5], v[8:9], 0xc1f00000, v[4:5]
	v_cvt_u32_f64_e32 v9, v[8:9]
	v_cvt_u32_f64_e32 v8, v[4:5]
	global_store_b64 v[6:7], v[8:9], off
.LBB7_1988:
	s_mov_b32 s7, 0
.LBB7_1989:
	s_delay_alu instid0(SALU_CYCLE_1)
	s_and_b32 vcc_lo, exec_lo, s7
	s_cbranch_vccz .LBB7_2005
; %bb.1990:
	s_cmp_lt_i32 s2, 27
	s_mov_b32 s6, -1
	s_cbranch_scc1 .LBB7_1996
; %bb.1991:
	s_wait_xcnt 0x0
	v_cvt_u32_f64_e32 v4, v[2:3]
	s_cmp_gt_i32 s2, 27
	s_cbranch_scc0 .LBB7_1993
; %bb.1992:
	s_mov_b32 s6, 0
	global_store_b32 v[6:7], v4, off
.LBB7_1993:
	s_and_not1_b32 vcc_lo, exec_lo, s6
	s_cbranch_vccnz .LBB7_1995
; %bb.1994:
	global_store_b16 v[6:7], v4, off
.LBB7_1995:
	s_mov_b32 s6, 0
.LBB7_1996:
	s_delay_alu instid0(SALU_CYCLE_1)
	s_and_not1_b32 vcc_lo, exec_lo, s6
	s_cbranch_vccnz .LBB7_2004
; %bb.1997:
	s_wait_xcnt 0x0
	v_cvt_f32_f64_e32 v4, v[2:3]
	v_mov_b32_e32 v8, 0x80
	s_mov_b32 s6, exec_lo
	s_delay_alu instid0(VALU_DEP_2) | instskip(NEXT) | instid1(VALU_DEP_1)
	v_and_b32_e32 v5, 0x7fffffff, v4
	v_cmpx_gt_u32_e32 0x43800000, v5
	s_cbranch_execz .LBB7_2003
; %bb.1998:
	v_cmp_lt_u32_e32 vcc_lo, 0x3bffffff, v5
	s_mov_b32 s7, 0
                                        ; implicit-def: $vgpr5
	s_and_saveexec_b32 s11, vcc_lo
	s_delay_alu instid0(SALU_CYCLE_1)
	s_xor_b32 s11, exec_lo, s11
	s_cbranch_execz .LBB7_2180
; %bb.1999:
	v_bfe_u32 v5, v4, 20, 1
	s_mov_b32 s7, exec_lo
	s_delay_alu instid0(VALU_DEP_1) | instskip(NEXT) | instid1(VALU_DEP_1)
	v_add3_u32 v5, v4, v5, 0x487ffff
	v_lshrrev_b32_e32 v5, 20, v5
	s_and_not1_saveexec_b32 s11, s11
	s_cbranch_execnz .LBB7_2181
.LBB7_2000:
	s_or_b32 exec_lo, exec_lo, s11
	v_mov_b32_e32 v8, 0
	s_and_saveexec_b32 s11, s7
.LBB7_2001:
	v_lshrrev_b32_e32 v4, 24, v4
	s_delay_alu instid0(VALU_DEP_1)
	v_and_or_b32 v8, 0x80, v4, v5
.LBB7_2002:
	s_or_b32 exec_lo, exec_lo, s11
.LBB7_2003:
	s_delay_alu instid0(SALU_CYCLE_1)
	s_or_b32 exec_lo, exec_lo, s6
	global_store_b8 v[6:7], v8, off
.LBB7_2004:
	s_mov_b32 s6, -1
.LBB7_2005:
	s_mov_b32 s7, 0
.LBB7_2006:
	s_delay_alu instid0(SALU_CYCLE_1)
	s_and_b32 vcc_lo, exec_lo, s7
	s_cbranch_vccz .LBB7_2046
; %bb.2007:
	s_cmp_gt_i32 s2, 22
	s_mov_b32 s3, -1
	s_cbranch_scc0 .LBB7_2039
; %bb.2008:
	s_cmp_lt_i32 s2, 24
	s_cbranch_scc1 .LBB7_2028
; %bb.2009:
	s_cmp_gt_i32 s2, 24
	s_cbranch_scc0 .LBB7_2017
; %bb.2010:
	s_wait_xcnt 0x0
	v_cvt_f32_f64_e32 v4, v[2:3]
	v_mov_b32_e32 v8, 0x80
	s_mov_b32 s3, exec_lo
	s_delay_alu instid0(VALU_DEP_2) | instskip(NEXT) | instid1(VALU_DEP_1)
	v_and_b32_e32 v5, 0x7fffffff, v4
	v_cmpx_gt_u32_e32 0x47800000, v5
	s_cbranch_execz .LBB7_2016
; %bb.2011:
	v_cmp_lt_u32_e32 vcc_lo, 0x37ffffff, v5
	s_mov_b32 s6, 0
                                        ; implicit-def: $vgpr5
	s_and_saveexec_b32 s7, vcc_lo
	s_delay_alu instid0(SALU_CYCLE_1)
	s_xor_b32 s7, exec_lo, s7
	s_cbranch_execz .LBB7_2183
; %bb.2012:
	v_bfe_u32 v5, v4, 21, 1
	s_mov_b32 s6, exec_lo
	s_delay_alu instid0(VALU_DEP_1) | instskip(NEXT) | instid1(VALU_DEP_1)
	v_add3_u32 v5, v4, v5, 0x88fffff
	v_lshrrev_b32_e32 v5, 21, v5
	s_and_not1_saveexec_b32 s7, s7
	s_cbranch_execnz .LBB7_2184
.LBB7_2013:
	s_or_b32 exec_lo, exec_lo, s7
	v_mov_b32_e32 v8, 0
	s_and_saveexec_b32 s7, s6
.LBB7_2014:
	v_lshrrev_b32_e32 v4, 24, v4
	s_delay_alu instid0(VALU_DEP_1)
	v_and_or_b32 v8, 0x80, v4, v5
.LBB7_2015:
	s_or_b32 exec_lo, exec_lo, s7
.LBB7_2016:
	s_delay_alu instid0(SALU_CYCLE_1)
	s_or_b32 exec_lo, exec_lo, s3
	s_mov_b32 s3, 0
	global_store_b8 v[6:7], v8, off
.LBB7_2017:
	s_and_b32 vcc_lo, exec_lo, s3
	s_cbranch_vccz .LBB7_2027
; %bb.2018:
	s_wait_xcnt 0x0
	v_cvt_f32_f64_e32 v4, v[2:3]
	s_mov_b32 s3, exec_lo
                                        ; implicit-def: $vgpr5
	s_delay_alu instid0(VALU_DEP_1) | instskip(NEXT) | instid1(VALU_DEP_1)
	v_and_b32_e32 v8, 0x7fffffff, v4
	v_cmpx_gt_u32_e32 0x43f00000, v8
	s_xor_b32 s3, exec_lo, s3
	s_cbranch_execz .LBB7_2024
; %bb.2019:
	s_mov_b32 s6, exec_lo
                                        ; implicit-def: $vgpr5
	v_cmpx_lt_u32_e32 0x3c7fffff, v8
	s_xor_b32 s6, exec_lo, s6
; %bb.2020:
	v_bfe_u32 v5, v4, 20, 1
	s_delay_alu instid0(VALU_DEP_1) | instskip(NEXT) | instid1(VALU_DEP_1)
	v_add3_u32 v5, v4, v5, 0x407ffff
	v_and_b32_e32 v8, 0xff00000, v5
	v_lshrrev_b32_e32 v5, 20, v5
	s_delay_alu instid0(VALU_DEP_2) | instskip(NEXT) | instid1(VALU_DEP_2)
	v_cmp_ne_u32_e32 vcc_lo, 0x7f00000, v8
	v_cndmask_b32_e32 v5, 0x7e, v5, vcc_lo
; %bb.2021:
	s_and_not1_saveexec_b32 s6, s6
; %bb.2022:
	v_add_f32_e64 v5, 0x46800000, |v4|
; %bb.2023:
	s_or_b32 exec_lo, exec_lo, s6
                                        ; implicit-def: $vgpr8
.LBB7_2024:
	s_and_not1_saveexec_b32 s3, s3
; %bb.2025:
	v_mov_b32_e32 v5, 0x7f
	v_cmp_lt_u32_e32 vcc_lo, 0x7f800000, v8
	s_delay_alu instid0(VALU_DEP_2)
	v_cndmask_b32_e32 v5, 0x7e, v5, vcc_lo
; %bb.2026:
	s_or_b32 exec_lo, exec_lo, s3
	v_lshrrev_b32_e32 v4, 24, v4
	s_delay_alu instid0(VALU_DEP_1)
	v_and_or_b32 v4, 0x80, v4, v5
	global_store_b8 v[6:7], v4, off
.LBB7_2027:
	s_mov_b32 s3, 0
.LBB7_2028:
	s_delay_alu instid0(SALU_CYCLE_1)
	s_and_not1_b32 vcc_lo, exec_lo, s3
	s_cbranch_vccnz .LBB7_2038
; %bb.2029:
	s_wait_xcnt 0x0
	v_cvt_f32_f64_e32 v4, v[2:3]
	s_mov_b32 s3, exec_lo
                                        ; implicit-def: $vgpr5
	s_delay_alu instid0(VALU_DEP_1) | instskip(NEXT) | instid1(VALU_DEP_1)
	v_and_b32_e32 v8, 0x7fffffff, v4
	v_cmpx_gt_u32_e32 0x47800000, v8
	s_xor_b32 s3, exec_lo, s3
	s_cbranch_execz .LBB7_2035
; %bb.2030:
	s_mov_b32 s6, exec_lo
                                        ; implicit-def: $vgpr5
	v_cmpx_lt_u32_e32 0x387fffff, v8
	s_xor_b32 s6, exec_lo, s6
; %bb.2031:
	v_bfe_u32 v5, v4, 21, 1
	s_delay_alu instid0(VALU_DEP_1) | instskip(NEXT) | instid1(VALU_DEP_1)
	v_add3_u32 v5, v4, v5, 0x80fffff
	v_lshrrev_b32_e32 v5, 21, v5
; %bb.2032:
	s_and_not1_saveexec_b32 s6, s6
; %bb.2033:
	v_add_f32_e64 v5, 0x43000000, |v4|
; %bb.2034:
	s_or_b32 exec_lo, exec_lo, s6
                                        ; implicit-def: $vgpr8
.LBB7_2035:
	s_and_not1_saveexec_b32 s3, s3
; %bb.2036:
	v_mov_b32_e32 v5, 0x7f
	v_cmp_lt_u32_e32 vcc_lo, 0x7f800000, v8
	s_delay_alu instid0(VALU_DEP_2)
	v_cndmask_b32_e32 v5, 0x7c, v5, vcc_lo
; %bb.2037:
	s_or_b32 exec_lo, exec_lo, s3
	v_lshrrev_b32_e32 v4, 24, v4
	s_delay_alu instid0(VALU_DEP_1)
	v_and_or_b32 v4, 0x80, v4, v5
	global_store_b8 v[6:7], v4, off
.LBB7_2038:
	s_mov_b32 s3, 0
	s_mov_b32 s6, -1
.LBB7_2039:
	s_and_not1_b32 vcc_lo, exec_lo, s3
	s_mov_b32 s3, 0
	s_cbranch_vccnz .LBB7_2046
; %bb.2040:
	s_cmp_gt_i32 s2, 14
	s_mov_b32 s3, -1
	s_cbranch_scc0 .LBB7_2044
; %bb.2041:
	s_cmp_eq_u32 s2, 15
	s_mov_b32 s0, -1
	s_cbranch_scc0 .LBB7_2043
; %bb.2042:
	s_wait_xcnt 0x0
	v_cvt_f32_f64_e32 v4, v[2:3]
	s_mov_b32 s0, 0
	s_mov_b32 s6, -1
	s_delay_alu instid0(VALU_DEP_1) | instskip(SKIP_1) | instid1(VALU_DEP_2)
	v_bfe_u32 v5, v4, 16, 1
	v_cmp_o_f32_e32 vcc_lo, v4, v4
	v_add3_u32 v5, v4, v5, 0x7fff
	s_delay_alu instid0(VALU_DEP_1) | instskip(NEXT) | instid1(VALU_DEP_1)
	v_lshrrev_b32_e32 v5, 16, v5
	v_cndmask_b32_e32 v4, 0x7fc0, v5, vcc_lo
	global_store_b16 v[6:7], v4, off
.LBB7_2043:
	s_mov_b32 s3, 0
.LBB7_2044:
	s_delay_alu instid0(SALU_CYCLE_1)
	s_and_b32 vcc_lo, exec_lo, s3
	s_mov_b32 s3, 0
	s_cbranch_vccz .LBB7_2046
; %bb.2045:
	s_cmp_lg_u32 s2, 11
	s_mov_b32 s3, -1
	s_cselect_b32 s0, -1, 0
.LBB7_2046:
	s_delay_alu instid0(SALU_CYCLE_1)
	s_and_b32 vcc_lo, exec_lo, s0
	s_cbranch_vccnz .LBB7_2182
; %bb.2047:
	s_and_not1_b32 vcc_lo, exec_lo, s3
	s_cbranch_vccnz .LBB7_2049
.LBB7_2048:
	v_cmp_neq_f64_e32 vcc_lo, 0, v[2:3]
	s_mov_b32 s6, -1
	s_wait_xcnt 0x0
	v_cndmask_b32_e64 v4, 0, 1, vcc_lo
	global_store_b8 v[6:7], v4, off
.LBB7_2049:
	s_mov_b32 s0, 0
	s_branch .LBB7_2051
.LBB7_2050:
	s_mov_b32 s0, -1
	s_mov_b32 s6, 0
.LBB7_2051:
	s_and_b32 vcc_lo, exec_lo, s0
	s_cbranch_vccz .LBB7_2090
; %bb.2052:
	s_cmp_lt_i32 s2, 5
	s_mov_b32 s0, -1
	s_cbranch_scc1 .LBB7_2073
; %bb.2053:
	s_cmp_lt_i32 s2, 8
	s_cbranch_scc1 .LBB7_2063
; %bb.2054:
	s_cmp_lt_i32 s2, 9
	s_cbranch_scc1 .LBB7_2060
; %bb.2055:
	s_cmp_gt_i32 s2, 9
	s_cbranch_scc0 .LBB7_2057
; %bb.2056:
	s_wait_xcnt 0x0
	v_mov_b32_e32 v4, 0
	s_mov_b32 s0, 0
	s_delay_alu instid0(VALU_DEP_1)
	v_mov_b32_e32 v5, v4
	global_store_b128 v[6:7], v[2:5], off
.LBB7_2057:
	s_and_not1_b32 vcc_lo, exec_lo, s0
	s_cbranch_vccnz .LBB7_2059
; %bb.2058:
	s_wait_xcnt 0x0
	v_cvt_f32_f64_e32 v4, v[2:3]
	v_mov_b32_e32 v5, 0
	global_store_b64 v[6:7], v[4:5], off
.LBB7_2059:
	s_mov_b32 s0, 0
.LBB7_2060:
	s_delay_alu instid0(SALU_CYCLE_1)
	s_and_not1_b32 vcc_lo, exec_lo, s0
	s_cbranch_vccnz .LBB7_2062
; %bb.2061:
	s_wait_xcnt 0x0
	v_and_or_b32 v4, 0x1ff, v3, v2
	v_lshrrev_b32_e32 v5, 8, v3
	v_bfe_u32 v8, v3, 20, 11
	s_delay_alu instid0(VALU_DEP_3) | instskip(NEXT) | instid1(VALU_DEP_2)
	v_cmp_ne_u32_e32 vcc_lo, 0, v4
	v_sub_nc_u32_e32 v9, 0x3f1, v8
	v_cndmask_b32_e64 v4, 0, 1, vcc_lo
	s_delay_alu instid0(VALU_DEP_1) | instskip(NEXT) | instid1(VALU_DEP_3)
	v_and_or_b32 v4, 0xffe, v5, v4
	v_med3_i32 v5, v9, 0, 13
	s_delay_alu instid0(VALU_DEP_2) | instskip(NEXT) | instid1(VALU_DEP_1)
	v_or_b32_e32 v9, 0x1000, v4
	v_lshrrev_b32_e32 v11, v5, v9
	s_delay_alu instid0(VALU_DEP_1) | instskip(NEXT) | instid1(VALU_DEP_1)
	v_lshlrev_b32_e32 v5, v5, v11
	v_cmp_ne_u32_e32 vcc_lo, v5, v9
	v_cndmask_b32_e64 v5, 0, 1, vcc_lo
	s_delay_alu instid0(VALU_DEP_1) | instskip(SKIP_1) | instid1(VALU_DEP_1)
	v_or_b32_e32 v5, v11, v5
	v_add_nc_u32_e32 v8, 0xfffffc10, v8
	v_lshl_or_b32 v9, v8, 12, v4
	v_cmp_gt_i32_e32 vcc_lo, 1, v8
	s_delay_alu instid0(VALU_DEP_2) | instskip(NEXT) | instid1(VALU_DEP_1)
	v_cndmask_b32_e32 v5, v9, v5, vcc_lo
	v_dual_lshrrev_b32 v5, 2, v5 :: v_dual_bitop2_b32 v9, 7, v5 bitop3:0x40
	s_delay_alu instid0(VALU_DEP_1) | instskip(SKIP_4) | instid1(VALU_DEP_2)
	v_cmp_lt_i32_e32 vcc_lo, 5, v9
	v_cndmask_b32_e64 v11, 0, 1, vcc_lo
	v_cmp_eq_u32_e32 vcc_lo, 3, v9
	v_cndmask_b32_e64 v9, 0, 1, vcc_lo
	v_cmp_ne_u32_e32 vcc_lo, 0, v4
	v_or_b32_e32 v9, v9, v11
	v_mov_b32_e32 v11, 0x7e00
	s_delay_alu instid0(VALU_DEP_1) | instskip(SKIP_2) | instid1(VALU_DEP_3)
	v_dual_cndmask_b32 v4, 0x7c00, v11 :: v_dual_add_nc_u32 v5, v5, v9
	v_cmp_gt_i32_e32 vcc_lo, 31, v8
	v_lshrrev_b32_e32 v9, 16, v3
	v_cndmask_b32_e32 v5, 0x7c00, v5, vcc_lo
	v_cmp_eq_u32_e32 vcc_lo, 0x40f, v8
	s_delay_alu instid0(VALU_DEP_2) | instskip(NEXT) | instid1(VALU_DEP_4)
	v_cndmask_b32_e32 v4, v5, v4, vcc_lo
	v_and_b32_e32 v5, 0x8000, v9
	s_delay_alu instid0(VALU_DEP_1)
	v_bitop3_b32 v4, v5, 0xffff, v4 bitop3:0xc8
	global_store_b32 v[6:7], v4, off
.LBB7_2062:
	s_mov_b32 s0, 0
.LBB7_2063:
	s_delay_alu instid0(SALU_CYCLE_1)
	s_and_not1_b32 vcc_lo, exec_lo, s0
	s_cbranch_vccnz .LBB7_2072
; %bb.2064:
	s_cmp_lt_i32 s2, 6
	s_mov_b32 s0, -1
	s_cbranch_scc1 .LBB7_2070
; %bb.2065:
	s_cmp_gt_i32 s2, 6
	s_cbranch_scc0 .LBB7_2067
; %bb.2066:
	s_mov_b32 s0, 0
	global_store_b64 v[6:7], v[2:3], off
.LBB7_2067:
	s_and_not1_b32 vcc_lo, exec_lo, s0
	s_cbranch_vccnz .LBB7_2069
; %bb.2068:
	s_wait_xcnt 0x0
	v_cvt_f32_f64_e32 v4, v[2:3]
	global_store_b32 v[6:7], v4, off
.LBB7_2069:
	s_mov_b32 s0, 0
.LBB7_2070:
	s_delay_alu instid0(SALU_CYCLE_1)
	s_and_not1_b32 vcc_lo, exec_lo, s0
	s_cbranch_vccnz .LBB7_2072
; %bb.2071:
	s_wait_xcnt 0x0
	v_and_or_b32 v4, 0x1ff, v3, v2
	v_lshrrev_b32_e32 v5, 8, v3
	v_bfe_u32 v8, v3, 20, 11
	s_delay_alu instid0(VALU_DEP_3) | instskip(NEXT) | instid1(VALU_DEP_2)
	v_cmp_ne_u32_e32 vcc_lo, 0, v4
	v_sub_nc_u32_e32 v9, 0x3f1, v8
	v_cndmask_b32_e64 v4, 0, 1, vcc_lo
	s_delay_alu instid0(VALU_DEP_1) | instskip(NEXT) | instid1(VALU_DEP_3)
	v_and_or_b32 v4, 0xffe, v5, v4
	v_med3_i32 v5, v9, 0, 13
	s_delay_alu instid0(VALU_DEP_2) | instskip(NEXT) | instid1(VALU_DEP_1)
	v_or_b32_e32 v9, 0x1000, v4
	v_lshrrev_b32_e32 v11, v5, v9
	s_delay_alu instid0(VALU_DEP_1) | instskip(NEXT) | instid1(VALU_DEP_1)
	v_lshlrev_b32_e32 v5, v5, v11
	v_cmp_ne_u32_e32 vcc_lo, v5, v9
	v_cndmask_b32_e64 v5, 0, 1, vcc_lo
	s_delay_alu instid0(VALU_DEP_1) | instskip(SKIP_1) | instid1(VALU_DEP_1)
	v_or_b32_e32 v5, v11, v5
	v_add_nc_u32_e32 v8, 0xfffffc10, v8
	v_lshl_or_b32 v9, v8, 12, v4
	v_cmp_gt_i32_e32 vcc_lo, 1, v8
	s_delay_alu instid0(VALU_DEP_2) | instskip(NEXT) | instid1(VALU_DEP_1)
	v_cndmask_b32_e32 v5, v9, v5, vcc_lo
	v_dual_lshrrev_b32 v5, 2, v5 :: v_dual_bitop2_b32 v9, 7, v5 bitop3:0x40
	s_delay_alu instid0(VALU_DEP_1) | instskip(SKIP_4) | instid1(VALU_DEP_2)
	v_cmp_lt_i32_e32 vcc_lo, 5, v9
	v_cndmask_b32_e64 v11, 0, 1, vcc_lo
	v_cmp_eq_u32_e32 vcc_lo, 3, v9
	v_cndmask_b32_e64 v9, 0, 1, vcc_lo
	v_cmp_ne_u32_e32 vcc_lo, 0, v4
	v_or_b32_e32 v9, v9, v11
	v_mov_b32_e32 v11, 0x7e00
	s_delay_alu instid0(VALU_DEP_1) | instskip(SKIP_1) | instid1(VALU_DEP_2)
	v_dual_cndmask_b32 v4, 0x7c00, v11 :: v_dual_add_nc_u32 v5, v5, v9
	v_cmp_gt_i32_e32 vcc_lo, 31, v8
	v_cndmask_b32_e32 v5, 0x7c00, v5, vcc_lo
	v_cmp_eq_u32_e32 vcc_lo, 0x40f, v8
	s_delay_alu instid0(VALU_DEP_2) | instskip(NEXT) | instid1(VALU_DEP_1)
	v_dual_cndmask_b32 v4, v5, v4 :: v_dual_lshrrev_b32 v5, 16, v3
	v_and_or_b32 v4, 0x8000, v5, v4
	global_store_b16 v[6:7], v4, off
.LBB7_2072:
	s_mov_b32 s0, 0
.LBB7_2073:
	s_delay_alu instid0(SALU_CYCLE_1)
	s_and_not1_b32 vcc_lo, exec_lo, s0
	s_cbranch_vccnz .LBB7_2089
; %bb.2074:
	s_cmp_lt_i32 s2, 2
	s_mov_b32 s0, -1
	s_cbranch_scc1 .LBB7_2084
; %bb.2075:
	s_cmp_lt_i32 s2, 3
	s_cbranch_scc1 .LBB7_2081
; %bb.2076:
	s_cmp_gt_i32 s2, 3
	s_cbranch_scc0 .LBB7_2078
; %bb.2077:
	s_wait_xcnt 0x0
	v_trunc_f64_e32 v[4:5], v[2:3]
	s_mov_b32 s0, 0
	s_delay_alu instid0(VALU_DEP_1) | instskip(NEXT) | instid1(VALU_DEP_1)
	v_ldexp_f64 v[8:9], v[4:5], 0xffffffe0
	v_floor_f64_e32 v[8:9], v[8:9]
	s_delay_alu instid0(VALU_DEP_1) | instskip(SKIP_1) | instid1(VALU_DEP_2)
	v_fmamk_f64 v[4:5], v[8:9], 0xc1f00000, v[4:5]
	v_cvt_i32_f64_e32 v9, v[8:9]
	v_cvt_u32_f64_e32 v8, v[4:5]
	global_store_b64 v[6:7], v[8:9], off
.LBB7_2078:
	s_and_not1_b32 vcc_lo, exec_lo, s0
	s_cbranch_vccnz .LBB7_2080
; %bb.2079:
	s_wait_xcnt 0x0
	v_cvt_i32_f64_e32 v4, v[2:3]
	global_store_b32 v[6:7], v4, off
.LBB7_2080:
	s_mov_b32 s0, 0
.LBB7_2081:
	s_delay_alu instid0(SALU_CYCLE_1)
	s_and_not1_b32 vcc_lo, exec_lo, s0
	s_cbranch_vccnz .LBB7_2083
; %bb.2082:
	s_wait_xcnt 0x0
	v_cvt_i32_f64_e32 v4, v[2:3]
	global_store_b16 v[6:7], v4, off
.LBB7_2083:
	s_mov_b32 s0, 0
.LBB7_2084:
	s_delay_alu instid0(SALU_CYCLE_1)
	s_and_not1_b32 vcc_lo, exec_lo, s0
	s_cbranch_vccnz .LBB7_2089
; %bb.2085:
	s_cmp_gt_i32 s2, 0
	s_mov_b32 s0, -1
	s_cbranch_scc0 .LBB7_2087
; %bb.2086:
	s_wait_xcnt 0x0
	v_cvt_i32_f64_e32 v4, v[2:3]
	s_mov_b32 s0, 0
	global_store_b8 v[6:7], v4, off
.LBB7_2087:
	s_and_not1_b32 vcc_lo, exec_lo, s0
	s_cbranch_vccnz .LBB7_2089
; %bb.2088:
	s_wait_xcnt 0x0
	v_trunc_f64_e32 v[2:3], v[2:3]
	s_delay_alu instid0(VALU_DEP_1) | instskip(NEXT) | instid1(VALU_DEP_1)
	v_ldexp_f64 v[4:5], v[2:3], 0xffffffe0
	v_floor_f64_e32 v[4:5], v[4:5]
	s_delay_alu instid0(VALU_DEP_1) | instskip(NEXT) | instid1(VALU_DEP_1)
	v_fmamk_f64 v[2:3], v[4:5], 0xc1f00000, v[2:3]
	v_cvt_u32_f64_e32 v2, v[2:3]
	global_store_b8 v[6:7], v2, off
.LBB7_2089:
	s_mov_b32 s6, -1
.LBB7_2090:
	s_delay_alu instid0(SALU_CYCLE_1)
	s_and_not1_b32 vcc_lo, exec_lo, s6
	s_cbranch_vccnz .LBB7_2167
; %bb.2091:
	v_mov_b32_e32 v11, 0
	s_cmp_lt_i32 s2, 11
	s_wait_xcnt 0x0
	s_delay_alu instid0(VALU_DEP_1)
	v_add_nc_u64_e32 v[6:7], s[4:5], v[10:11]
	s_cbranch_scc1 .LBB7_2168
; %bb.2092:
	s_mov_b32 s4, -1
	s_mov_b32 s3, 0
	s_cmp_gt_i32 s2, 25
	s_mov_b32 s0, 0
	s_cbranch_scc0 .LBB7_2125
; %bb.2093:
	s_cmp_gt_i32 s2, 28
	s_cbranch_scc0 .LBB7_2109
; %bb.2094:
	s_cmp_gt_i32 s2, 43
	;; [unrolled: 3-line block ×3, first 2 shown]
	s_cbranch_scc0 .LBB7_2099
; %bb.2096:
	s_cmp_eq_u32 s2, 46
	s_mov_b32 s0, -1
	s_cbranch_scc0 .LBB7_2098
; %bb.2097:
	v_cvt_f32_f64_e32 v2, v[0:1]
	s_mov_b32 s0, 0
	s_delay_alu instid0(VALU_DEP_1) | instskip(SKIP_1) | instid1(VALU_DEP_2)
	v_bfe_u32 v3, v2, 16, 1
	v_cmp_o_f32_e32 vcc_lo, v2, v2
	v_add3_u32 v3, v2, v3, 0x7fff
	s_delay_alu instid0(VALU_DEP_1) | instskip(NEXT) | instid1(VALU_DEP_1)
	v_lshrrev_b32_e32 v3, 16, v3
	v_cndmask_b32_e32 v2, 0x7fc0, v3, vcc_lo
	global_store_b32 v[6:7], v2, off
.LBB7_2098:
	s_mov_b32 s4, 0
.LBB7_2099:
	s_delay_alu instid0(SALU_CYCLE_1)
	s_and_b32 vcc_lo, exec_lo, s4
	s_cbranch_vccz .LBB7_2104
; %bb.2100:
	s_cmp_eq_u32 s2, 44
	s_mov_b32 s0, -1
	s_cbranch_scc0 .LBB7_2104
; %bb.2101:
	s_wait_xcnt 0x0
	v_cvt_f32_f64_e32 v2, v[0:1]
	v_mov_b32_e32 v3, 0xff
	s_mov_b32 s4, exec_lo
	s_delay_alu instid0(VALU_DEP_2) | instskip(NEXT) | instid1(VALU_DEP_1)
	v_bfe_u32 v4, v2, 23, 8
	v_cmpx_ne_u32_e32 0xff, v4
	s_cbranch_execz .LBB7_2103
; %bb.2102:
	v_and_b32_e32 v3, 0x400000, v2
	v_and_or_b32 v4, 0x3fffff, v2, v4
	v_lshrrev_b32_e32 v2, 23, v2
	s_delay_alu instid0(VALU_DEP_3) | instskip(NEXT) | instid1(VALU_DEP_3)
	v_cmp_ne_u32_e32 vcc_lo, 0, v3
	v_cmp_ne_u32_e64 s0, 0, v4
	s_and_b32 s0, vcc_lo, s0
	s_delay_alu instid0(SALU_CYCLE_1) | instskip(NEXT) | instid1(VALU_DEP_1)
	v_cndmask_b32_e64 v3, 0, 1, s0
	v_add_nc_u32_e32 v3, v2, v3
.LBB7_2103:
	s_or_b32 exec_lo, exec_lo, s4
	s_mov_b32 s0, 0
	global_store_b8 v[6:7], v3, off
.LBB7_2104:
	s_mov_b32 s4, 0
.LBB7_2105:
	s_delay_alu instid0(SALU_CYCLE_1)
	s_and_b32 vcc_lo, exec_lo, s4
	s_cbranch_vccz .LBB7_2108
; %bb.2106:
	s_cmp_eq_u32 s2, 29
	s_mov_b32 s0, -1
	s_cbranch_scc0 .LBB7_2108
; %bb.2107:
	s_wait_xcnt 0x0
	v_trunc_f64_e32 v[2:3], v[0:1]
	s_mov_b32 s0, 0
	s_delay_alu instid0(VALU_DEP_1) | instskip(NEXT) | instid1(VALU_DEP_1)
	v_ldexp_f64 v[4:5], v[2:3], 0xffffffe0
	v_floor_f64_e32 v[4:5], v[4:5]
	s_delay_alu instid0(VALU_DEP_1) | instskip(SKIP_1) | instid1(VALU_DEP_2)
	v_fmamk_f64 v[2:3], v[4:5], 0xc1f00000, v[2:3]
	v_cvt_u32_f64_e32 v5, v[4:5]
	v_cvt_u32_f64_e32 v4, v[2:3]
	global_store_b64 v[6:7], v[4:5], off
.LBB7_2108:
	s_mov_b32 s4, 0
.LBB7_2109:
	s_delay_alu instid0(SALU_CYCLE_1)
	s_and_b32 vcc_lo, exec_lo, s4
	s_cbranch_vccz .LBB7_2124
; %bb.2110:
	s_cmp_lt_i32 s2, 27
	s_mov_b32 s4, -1
	s_cbranch_scc1 .LBB7_2116
; %bb.2111:
	s_cmp_gt_i32 s2, 27
	s_cbranch_scc0 .LBB7_2113
; %bb.2112:
	s_wait_xcnt 0x0
	v_cvt_u32_f64_e32 v2, v[0:1]
	s_mov_b32 s4, 0
	global_store_b32 v[6:7], v2, off
.LBB7_2113:
	s_and_not1_b32 vcc_lo, exec_lo, s4
	s_cbranch_vccnz .LBB7_2115
; %bb.2114:
	s_wait_xcnt 0x0
	v_cvt_u32_f64_e32 v2, v[0:1]
	global_store_b16 v[6:7], v2, off
.LBB7_2115:
	s_mov_b32 s4, 0
.LBB7_2116:
	s_delay_alu instid0(SALU_CYCLE_1)
	s_and_not1_b32 vcc_lo, exec_lo, s4
	s_cbranch_vccnz .LBB7_2124
; %bb.2117:
	s_wait_xcnt 0x0
	v_cvt_f32_f64_e32 v2, v[0:1]
	v_mov_b32_e32 v4, 0x80
	s_mov_b32 s4, exec_lo
	s_delay_alu instid0(VALU_DEP_2) | instskip(NEXT) | instid1(VALU_DEP_1)
	v_and_b32_e32 v3, 0x7fffffff, v2
	v_cmpx_gt_u32_e32 0x43800000, v3
	s_cbranch_execz .LBB7_2123
; %bb.2118:
	v_cmp_lt_u32_e32 vcc_lo, 0x3bffffff, v3
	s_mov_b32 s5, 0
                                        ; implicit-def: $vgpr3
	s_and_saveexec_b32 s6, vcc_lo
	s_delay_alu instid0(SALU_CYCLE_1)
	s_xor_b32 s6, exec_lo, s6
	s_cbranch_execz .LBB7_2185
; %bb.2119:
	v_bfe_u32 v3, v2, 20, 1
	s_mov_b32 s5, exec_lo
	s_delay_alu instid0(VALU_DEP_1) | instskip(NEXT) | instid1(VALU_DEP_1)
	v_add3_u32 v3, v2, v3, 0x487ffff
	v_lshrrev_b32_e32 v3, 20, v3
	s_and_not1_saveexec_b32 s6, s6
	s_cbranch_execnz .LBB7_2186
.LBB7_2120:
	s_or_b32 exec_lo, exec_lo, s6
	v_mov_b32_e32 v4, 0
	s_and_saveexec_b32 s6, s5
.LBB7_2121:
	v_lshrrev_b32_e32 v2, 24, v2
	s_delay_alu instid0(VALU_DEP_1)
	v_and_or_b32 v4, 0x80, v2, v3
.LBB7_2122:
	s_or_b32 exec_lo, exec_lo, s6
.LBB7_2123:
	s_delay_alu instid0(SALU_CYCLE_1)
	s_or_b32 exec_lo, exec_lo, s4
	global_store_b8 v[6:7], v4, off
.LBB7_2124:
	s_mov_b32 s4, 0
.LBB7_2125:
	s_delay_alu instid0(SALU_CYCLE_1)
	s_and_b32 vcc_lo, exec_lo, s4
	s_cbranch_vccz .LBB7_2165
; %bb.2126:
	s_cmp_gt_i32 s2, 22
	s_mov_b32 s3, -1
	s_cbranch_scc0 .LBB7_2158
; %bb.2127:
	s_cmp_lt_i32 s2, 24
	s_cbranch_scc1 .LBB7_2147
; %bb.2128:
	s_cmp_gt_i32 s2, 24
	s_cbranch_scc0 .LBB7_2136
; %bb.2129:
	s_wait_xcnt 0x0
	v_cvt_f32_f64_e32 v2, v[0:1]
	v_mov_b32_e32 v4, 0x80
	s_mov_b32 s3, exec_lo
	s_delay_alu instid0(VALU_DEP_2) | instskip(NEXT) | instid1(VALU_DEP_1)
	v_and_b32_e32 v3, 0x7fffffff, v2
	v_cmpx_gt_u32_e32 0x47800000, v3
	s_cbranch_execz .LBB7_2135
; %bb.2130:
	v_cmp_lt_u32_e32 vcc_lo, 0x37ffffff, v3
	s_mov_b32 s4, 0
                                        ; implicit-def: $vgpr3
	s_and_saveexec_b32 s5, vcc_lo
	s_delay_alu instid0(SALU_CYCLE_1)
	s_xor_b32 s5, exec_lo, s5
	s_cbranch_execz .LBB7_2188
; %bb.2131:
	v_bfe_u32 v3, v2, 21, 1
	s_mov_b32 s4, exec_lo
	s_delay_alu instid0(VALU_DEP_1) | instskip(NEXT) | instid1(VALU_DEP_1)
	v_add3_u32 v3, v2, v3, 0x88fffff
	v_lshrrev_b32_e32 v3, 21, v3
	s_and_not1_saveexec_b32 s5, s5
	s_cbranch_execnz .LBB7_2189
.LBB7_2132:
	s_or_b32 exec_lo, exec_lo, s5
	v_mov_b32_e32 v4, 0
	s_and_saveexec_b32 s5, s4
.LBB7_2133:
	v_lshrrev_b32_e32 v2, 24, v2
	s_delay_alu instid0(VALU_DEP_1)
	v_and_or_b32 v4, 0x80, v2, v3
.LBB7_2134:
	s_or_b32 exec_lo, exec_lo, s5
.LBB7_2135:
	s_delay_alu instid0(SALU_CYCLE_1)
	s_or_b32 exec_lo, exec_lo, s3
	s_mov_b32 s3, 0
	global_store_b8 v[6:7], v4, off
.LBB7_2136:
	s_and_b32 vcc_lo, exec_lo, s3
	s_cbranch_vccz .LBB7_2146
; %bb.2137:
	s_wait_xcnt 0x0
	v_cvt_f32_f64_e32 v2, v[0:1]
	s_mov_b32 s3, exec_lo
                                        ; implicit-def: $vgpr3
	s_delay_alu instid0(VALU_DEP_1) | instskip(NEXT) | instid1(VALU_DEP_1)
	v_and_b32_e32 v4, 0x7fffffff, v2
	v_cmpx_gt_u32_e32 0x43f00000, v4
	s_xor_b32 s3, exec_lo, s3
	s_cbranch_execz .LBB7_2143
; %bb.2138:
	s_mov_b32 s4, exec_lo
                                        ; implicit-def: $vgpr3
	v_cmpx_lt_u32_e32 0x3c7fffff, v4
	s_xor_b32 s4, exec_lo, s4
; %bb.2139:
	v_bfe_u32 v3, v2, 20, 1
	s_delay_alu instid0(VALU_DEP_1) | instskip(NEXT) | instid1(VALU_DEP_1)
	v_add3_u32 v3, v2, v3, 0x407ffff
	v_and_b32_e32 v4, 0xff00000, v3
	v_lshrrev_b32_e32 v3, 20, v3
	s_delay_alu instid0(VALU_DEP_2) | instskip(NEXT) | instid1(VALU_DEP_2)
	v_cmp_ne_u32_e32 vcc_lo, 0x7f00000, v4
	v_cndmask_b32_e32 v3, 0x7e, v3, vcc_lo
; %bb.2140:
	s_and_not1_saveexec_b32 s4, s4
; %bb.2141:
	v_add_f32_e64 v3, 0x46800000, |v2|
; %bb.2142:
	s_or_b32 exec_lo, exec_lo, s4
                                        ; implicit-def: $vgpr4
.LBB7_2143:
	s_and_not1_saveexec_b32 s3, s3
; %bb.2144:
	v_mov_b32_e32 v3, 0x7f
	v_cmp_lt_u32_e32 vcc_lo, 0x7f800000, v4
	s_delay_alu instid0(VALU_DEP_2)
	v_cndmask_b32_e32 v3, 0x7e, v3, vcc_lo
; %bb.2145:
	s_or_b32 exec_lo, exec_lo, s3
	v_lshrrev_b32_e32 v2, 24, v2
	s_delay_alu instid0(VALU_DEP_1)
	v_and_or_b32 v2, 0x80, v2, v3
	global_store_b8 v[6:7], v2, off
.LBB7_2146:
	s_mov_b32 s3, 0
.LBB7_2147:
	s_delay_alu instid0(SALU_CYCLE_1)
	s_and_not1_b32 vcc_lo, exec_lo, s3
	s_cbranch_vccnz .LBB7_2157
; %bb.2148:
	s_wait_xcnt 0x0
	v_cvt_f32_f64_e32 v2, v[0:1]
	s_mov_b32 s3, exec_lo
                                        ; implicit-def: $vgpr3
	s_delay_alu instid0(VALU_DEP_1) | instskip(NEXT) | instid1(VALU_DEP_1)
	v_and_b32_e32 v4, 0x7fffffff, v2
	v_cmpx_gt_u32_e32 0x47800000, v4
	s_xor_b32 s3, exec_lo, s3
	s_cbranch_execz .LBB7_2154
; %bb.2149:
	s_mov_b32 s4, exec_lo
                                        ; implicit-def: $vgpr3
	v_cmpx_lt_u32_e32 0x387fffff, v4
	s_xor_b32 s4, exec_lo, s4
; %bb.2150:
	v_bfe_u32 v3, v2, 21, 1
	s_delay_alu instid0(VALU_DEP_1) | instskip(NEXT) | instid1(VALU_DEP_1)
	v_add3_u32 v3, v2, v3, 0x80fffff
	v_lshrrev_b32_e32 v3, 21, v3
; %bb.2151:
	s_and_not1_saveexec_b32 s4, s4
; %bb.2152:
	v_add_f32_e64 v3, 0x43000000, |v2|
; %bb.2153:
	s_or_b32 exec_lo, exec_lo, s4
                                        ; implicit-def: $vgpr4
.LBB7_2154:
	s_and_not1_saveexec_b32 s3, s3
; %bb.2155:
	v_mov_b32_e32 v3, 0x7f
	v_cmp_lt_u32_e32 vcc_lo, 0x7f800000, v4
	s_delay_alu instid0(VALU_DEP_2)
	v_cndmask_b32_e32 v3, 0x7c, v3, vcc_lo
; %bb.2156:
	s_or_b32 exec_lo, exec_lo, s3
	v_lshrrev_b32_e32 v2, 24, v2
	s_delay_alu instid0(VALU_DEP_1)
	v_and_or_b32 v2, 0x80, v2, v3
	global_store_b8 v[6:7], v2, off
.LBB7_2157:
	s_mov_b32 s3, 0
.LBB7_2158:
	s_delay_alu instid0(SALU_CYCLE_1)
	s_and_not1_b32 vcc_lo, exec_lo, s3
	s_mov_b32 s3, 0
	s_cbranch_vccnz .LBB7_2165
; %bb.2159:
	s_cmp_gt_i32 s2, 14
	s_mov_b32 s3, -1
	s_cbranch_scc0 .LBB7_2163
; %bb.2160:
	s_cmp_eq_u32 s2, 15
	s_mov_b32 s0, -1
	s_cbranch_scc0 .LBB7_2162
; %bb.2161:
	s_wait_xcnt 0x0
	v_cvt_f32_f64_e32 v2, v[0:1]
	s_mov_b32 s0, 0
	s_delay_alu instid0(VALU_DEP_1) | instskip(SKIP_1) | instid1(VALU_DEP_2)
	v_bfe_u32 v3, v2, 16, 1
	v_cmp_o_f32_e32 vcc_lo, v2, v2
	v_add3_u32 v3, v2, v3, 0x7fff
	s_delay_alu instid0(VALU_DEP_1) | instskip(NEXT) | instid1(VALU_DEP_1)
	v_lshrrev_b32_e32 v3, 16, v3
	v_cndmask_b32_e32 v2, 0x7fc0, v3, vcc_lo
	global_store_b16 v[6:7], v2, off
.LBB7_2162:
	s_mov_b32 s3, 0
.LBB7_2163:
	s_delay_alu instid0(SALU_CYCLE_1)
	s_and_b32 vcc_lo, exec_lo, s3
	s_mov_b32 s3, 0
	s_cbranch_vccz .LBB7_2165
; %bb.2164:
	s_cmp_lg_u32 s2, 11
	s_mov_b32 s3, -1
	s_cselect_b32 s0, -1, 0
.LBB7_2165:
	s_delay_alu instid0(SALU_CYCLE_1)
	s_and_b32 vcc_lo, exec_lo, s0
	s_cbranch_vccnz .LBB7_2187
.LBB7_2166:
	s_mov_b32 s0, 0
	s_branch .LBB7_1768
.LBB7_2167:
	s_mov_b32 s0, 0
	s_mov_b32 s3, 0
                                        ; implicit-def: $vgpr6_vgpr7
                                        ; implicit-def: $sgpr1
	s_branch .LBB7_1768
.LBB7_2168:
	s_mov_b32 s3, 0
	s_mov_b32 s0, -1
	s_branch .LBB7_1768
.LBB7_2169:
	s_or_b32 s10, s10, exec_lo
	s_trap 2
	s_cbranch_execz .LBB7_1635
	s_branch .LBB7_1636
.LBB7_2170:
	s_and_not1_saveexec_b32 s11, s11
	s_cbranch_execz .LBB7_1717
.LBB7_2171:
	v_add_f32_e64 v9, 0x46000000, |v8|
	s_and_not1_b32 s7, s7, exec_lo
	s_delay_alu instid0(VALU_DEP_1) | instskip(NEXT) | instid1(VALU_DEP_1)
	v_and_b32_e32 v9, 0xff, v9
	v_cmp_ne_u32_e32 vcc_lo, 0, v9
	s_and_b32 s12, vcc_lo, exec_lo
	s_delay_alu instid0(SALU_CYCLE_1)
	s_or_b32 s7, s7, s12
	s_or_b32 exec_lo, exec_lo, s11
	v_mov_b32_e32 v11, 0
	s_and_saveexec_b32 s11, s7
	s_cbranch_execnz .LBB7_1718
	s_branch .LBB7_1719
.LBB7_2172:
	s_or_b32 s10, s10, exec_lo
	s_trap 2
	s_cbranch_execz .LBB7_1765
	s_branch .LBB7_1766
.LBB7_2173:
	s_and_not1_saveexec_b32 s7, s7
	s_cbranch_execz .LBB7_1730
.LBB7_2174:
	v_add_f32_e64 v9, 0x42800000, |v8|
	s_and_not1_b32 s6, s6, exec_lo
	s_delay_alu instid0(VALU_DEP_1) | instskip(NEXT) | instid1(VALU_DEP_1)
	v_and_b32_e32 v9, 0xff, v9
	v_cmp_ne_u32_e32 vcc_lo, 0, v9
	s_and_b32 s11, vcc_lo, exec_lo
	s_delay_alu instid0(SALU_CYCLE_1)
	s_or_b32 s6, s6, s11
	s_or_b32 exec_lo, exec_lo, s7
	v_mov_b32_e32 v11, 0
	s_and_saveexec_b32 s7, s6
	s_cbranch_execnz .LBB7_1731
	s_branch .LBB7_1732
.LBB7_2175:
	s_and_not1_saveexec_b32 s11, s11
	s_cbranch_execz .LBB7_1881
.LBB7_2176:
	v_add_f32_e64 v7, 0x46000000, |v6|
	s_and_not1_b32 s7, s7, exec_lo
	s_delay_alu instid0(VALU_DEP_1) | instskip(NEXT) | instid1(VALU_DEP_1)
	v_and_b32_e32 v7, 0xff, v7
	v_cmp_ne_u32_e32 vcc_lo, 0, v7
	s_and_b32 s12, vcc_lo, exec_lo
	s_delay_alu instid0(SALU_CYCLE_1)
	s_or_b32 s7, s7, s12
	s_or_b32 exec_lo, exec_lo, s11
	v_mov_b32_e32 v11, 0
	s_and_saveexec_b32 s11, s7
	s_cbranch_execnz .LBB7_1882
	s_branch .LBB7_1883
.LBB7_2177:
	s_or_b32 s10, s10, exec_lo
	s_trap 2
	s_cbranch_execz .LBB7_1929
	s_branch .LBB7_1930
.LBB7_2178:
	s_and_not1_saveexec_b32 s7, s7
	s_cbranch_execz .LBB7_1894
.LBB7_2179:
	v_add_f32_e64 v7, 0x42800000, |v6|
	s_and_not1_b32 s6, s6, exec_lo
	s_delay_alu instid0(VALU_DEP_1) | instskip(NEXT) | instid1(VALU_DEP_1)
	v_and_b32_e32 v7, 0xff, v7
	v_cmp_ne_u32_e32 vcc_lo, 0, v7
	s_and_b32 s11, vcc_lo, exec_lo
	s_delay_alu instid0(SALU_CYCLE_1)
	s_or_b32 s6, s6, s11
	s_or_b32 exec_lo, exec_lo, s7
	v_mov_b32_e32 v11, 0
	s_and_saveexec_b32 s7, s6
	s_cbranch_execnz .LBB7_1895
	s_branch .LBB7_1896
.LBB7_2180:
	s_and_not1_saveexec_b32 s11, s11
	s_cbranch_execz .LBB7_2000
.LBB7_2181:
	v_add_f32_e64 v5, 0x46000000, |v4|
	s_and_not1_b32 s7, s7, exec_lo
	s_delay_alu instid0(VALU_DEP_1) | instskip(NEXT) | instid1(VALU_DEP_1)
	v_and_b32_e32 v5, 0xff, v5
	v_cmp_ne_u32_e32 vcc_lo, 0, v5
	s_and_b32 s12, vcc_lo, exec_lo
	s_delay_alu instid0(SALU_CYCLE_1)
	s_or_b32 s7, s7, s12
	s_or_b32 exec_lo, exec_lo, s11
	v_mov_b32_e32 v8, 0
	s_and_saveexec_b32 s11, s7
	s_cbranch_execnz .LBB7_2001
	s_branch .LBB7_2002
.LBB7_2182:
	s_or_b32 s10, s10, exec_lo
	s_trap 2
	s_cbranch_execz .LBB7_2048
	s_branch .LBB7_2049
.LBB7_2183:
	s_and_not1_saveexec_b32 s7, s7
	s_cbranch_execz .LBB7_2013
.LBB7_2184:
	v_add_f32_e64 v5, 0x42800000, |v4|
	s_and_not1_b32 s6, s6, exec_lo
	s_delay_alu instid0(VALU_DEP_1) | instskip(NEXT) | instid1(VALU_DEP_1)
	v_and_b32_e32 v5, 0xff, v5
	v_cmp_ne_u32_e32 vcc_lo, 0, v5
	s_and_b32 s11, vcc_lo, exec_lo
	s_delay_alu instid0(SALU_CYCLE_1)
	s_or_b32 s6, s6, s11
	s_or_b32 exec_lo, exec_lo, s7
	v_mov_b32_e32 v8, 0
	s_and_saveexec_b32 s7, s6
	s_cbranch_execnz .LBB7_2014
	s_branch .LBB7_2015
.LBB7_2185:
	s_and_not1_saveexec_b32 s6, s6
	s_cbranch_execz .LBB7_2120
.LBB7_2186:
	v_add_f32_e64 v3, 0x46000000, |v2|
	s_and_not1_b32 s5, s5, exec_lo
	s_delay_alu instid0(VALU_DEP_1) | instskip(NEXT) | instid1(VALU_DEP_1)
	v_and_b32_e32 v3, 0xff, v3
	v_cmp_ne_u32_e32 vcc_lo, 0, v3
	s_and_b32 s7, vcc_lo, exec_lo
	s_delay_alu instid0(SALU_CYCLE_1)
	s_or_b32 s5, s5, s7
	s_or_b32 exec_lo, exec_lo, s6
	v_mov_b32_e32 v4, 0
	s_and_saveexec_b32 s6, s5
	s_cbranch_execnz .LBB7_2121
	s_branch .LBB7_2122
.LBB7_2187:
	s_mov_b32 s3, 0
	s_or_b32 s10, s10, exec_lo
	s_trap 2
	s_branch .LBB7_2166
.LBB7_2188:
	s_and_not1_saveexec_b32 s5, s5
	s_cbranch_execz .LBB7_2132
.LBB7_2189:
	v_add_f32_e64 v3, 0x42800000, |v2|
	s_and_not1_b32 s4, s4, exec_lo
	s_delay_alu instid0(VALU_DEP_1) | instskip(NEXT) | instid1(VALU_DEP_1)
	v_and_b32_e32 v3, 0xff, v3
	v_cmp_ne_u32_e32 vcc_lo, 0, v3
	s_and_b32 s6, vcc_lo, exec_lo
	s_delay_alu instid0(SALU_CYCLE_1)
	s_or_b32 s4, s4, s6
	s_or_b32 exec_lo, exec_lo, s5
	v_mov_b32_e32 v4, 0
	s_and_saveexec_b32 s5, s4
	s_cbranch_execnz .LBB7_2133
	s_branch .LBB7_2134
	.section	.rodata,"a",@progbits
	.p2align	6, 0x0
	.amdhsa_kernel _ZN2at6native32elementwise_kernel_manual_unrollILi128ELi4EZNS0_15gpu_kernel_implIZZZNS0_12_GLOBAL__N_124renorm_scale_factor_implERNS_18TensorIteratorBaseEdENKUlvE_clEvENKUlvE_clEvEUldE_EEvS5_RKT_EUlibE0_EEviT1_
		.amdhsa_group_segment_fixed_size 0
		.amdhsa_private_segment_fixed_size 0
		.amdhsa_kernarg_size 368
		.amdhsa_user_sgpr_count 2
		.amdhsa_user_sgpr_dispatch_ptr 0
		.amdhsa_user_sgpr_queue_ptr 0
		.amdhsa_user_sgpr_kernarg_segment_ptr 1
		.amdhsa_user_sgpr_dispatch_id 0
		.amdhsa_user_sgpr_kernarg_preload_length 0
		.amdhsa_user_sgpr_kernarg_preload_offset 0
		.amdhsa_user_sgpr_private_segment_size 0
		.amdhsa_wavefront_size32 1
		.amdhsa_uses_dynamic_stack 0
		.amdhsa_enable_private_segment 0
		.amdhsa_system_sgpr_workgroup_id_x 1
		.amdhsa_system_sgpr_workgroup_id_y 0
		.amdhsa_system_sgpr_workgroup_id_z 0
		.amdhsa_system_sgpr_workgroup_info 0
		.amdhsa_system_vgpr_workitem_id 0
		.amdhsa_next_free_vgpr 24
		.amdhsa_next_free_sgpr 68
		.amdhsa_named_barrier_count 0
		.amdhsa_reserve_vcc 1
		.amdhsa_float_round_mode_32 0
		.amdhsa_float_round_mode_16_64 0
		.amdhsa_float_denorm_mode_32 3
		.amdhsa_float_denorm_mode_16_64 3
		.amdhsa_fp16_overflow 0
		.amdhsa_memory_ordered 1
		.amdhsa_forward_progress 1
		.amdhsa_inst_pref_size 255
		.amdhsa_round_robin_scheduling 0
		.amdhsa_exception_fp_ieee_invalid_op 0
		.amdhsa_exception_fp_denorm_src 0
		.amdhsa_exception_fp_ieee_div_zero 0
		.amdhsa_exception_fp_ieee_overflow 0
		.amdhsa_exception_fp_ieee_underflow 0
		.amdhsa_exception_fp_ieee_inexact 0
		.amdhsa_exception_int_div_zero 0
	.end_amdhsa_kernel
	.section	.text._ZN2at6native32elementwise_kernel_manual_unrollILi128ELi4EZNS0_15gpu_kernel_implIZZZNS0_12_GLOBAL__N_124renorm_scale_factor_implERNS_18TensorIteratorBaseEdENKUlvE_clEvENKUlvE_clEvEUldE_EEvS5_RKT_EUlibE0_EEviT1_,"axG",@progbits,_ZN2at6native32elementwise_kernel_manual_unrollILi128ELi4EZNS0_15gpu_kernel_implIZZZNS0_12_GLOBAL__N_124renorm_scale_factor_implERNS_18TensorIteratorBaseEdENKUlvE_clEvENKUlvE_clEvEUldE_EEvS5_RKT_EUlibE0_EEviT1_,comdat
.Lfunc_end7:
	.size	_ZN2at6native32elementwise_kernel_manual_unrollILi128ELi4EZNS0_15gpu_kernel_implIZZZNS0_12_GLOBAL__N_124renorm_scale_factor_implERNS_18TensorIteratorBaseEdENKUlvE_clEvENKUlvE_clEvEUldE_EEvS5_RKT_EUlibE0_EEviT1_, .Lfunc_end7-_ZN2at6native32elementwise_kernel_manual_unrollILi128ELi4EZNS0_15gpu_kernel_implIZZZNS0_12_GLOBAL__N_124renorm_scale_factor_implERNS_18TensorIteratorBaseEdENKUlvE_clEvENKUlvE_clEvEUldE_EEvS5_RKT_EUlibE0_EEviT1_
                                        ; -- End function
	.set _ZN2at6native32elementwise_kernel_manual_unrollILi128ELi4EZNS0_15gpu_kernel_implIZZZNS0_12_GLOBAL__N_124renorm_scale_factor_implERNS_18TensorIteratorBaseEdENKUlvE_clEvENKUlvE_clEvEUldE_EEvS5_RKT_EUlibE0_EEviT1_.num_vgpr, 24
	.set _ZN2at6native32elementwise_kernel_manual_unrollILi128ELi4EZNS0_15gpu_kernel_implIZZZNS0_12_GLOBAL__N_124renorm_scale_factor_implERNS_18TensorIteratorBaseEdENKUlvE_clEvENKUlvE_clEvEUldE_EEvS5_RKT_EUlibE0_EEviT1_.num_agpr, 0
	.set _ZN2at6native32elementwise_kernel_manual_unrollILi128ELi4EZNS0_15gpu_kernel_implIZZZNS0_12_GLOBAL__N_124renorm_scale_factor_implERNS_18TensorIteratorBaseEdENKUlvE_clEvENKUlvE_clEvEUldE_EEvS5_RKT_EUlibE0_EEviT1_.numbered_sgpr, 68
	.set _ZN2at6native32elementwise_kernel_manual_unrollILi128ELi4EZNS0_15gpu_kernel_implIZZZNS0_12_GLOBAL__N_124renorm_scale_factor_implERNS_18TensorIteratorBaseEdENKUlvE_clEvENKUlvE_clEvEUldE_EEvS5_RKT_EUlibE0_EEviT1_.num_named_barrier, 0
	.set _ZN2at6native32elementwise_kernel_manual_unrollILi128ELi4EZNS0_15gpu_kernel_implIZZZNS0_12_GLOBAL__N_124renorm_scale_factor_implERNS_18TensorIteratorBaseEdENKUlvE_clEvENKUlvE_clEvEUldE_EEvS5_RKT_EUlibE0_EEviT1_.private_seg_size, 0
	.set _ZN2at6native32elementwise_kernel_manual_unrollILi128ELi4EZNS0_15gpu_kernel_implIZZZNS0_12_GLOBAL__N_124renorm_scale_factor_implERNS_18TensorIteratorBaseEdENKUlvE_clEvENKUlvE_clEvEUldE_EEvS5_RKT_EUlibE0_EEviT1_.uses_vcc, 1
	.set _ZN2at6native32elementwise_kernel_manual_unrollILi128ELi4EZNS0_15gpu_kernel_implIZZZNS0_12_GLOBAL__N_124renorm_scale_factor_implERNS_18TensorIteratorBaseEdENKUlvE_clEvENKUlvE_clEvEUldE_EEvS5_RKT_EUlibE0_EEviT1_.uses_flat_scratch, 0
	.set _ZN2at6native32elementwise_kernel_manual_unrollILi128ELi4EZNS0_15gpu_kernel_implIZZZNS0_12_GLOBAL__N_124renorm_scale_factor_implERNS_18TensorIteratorBaseEdENKUlvE_clEvENKUlvE_clEvEUldE_EEvS5_RKT_EUlibE0_EEviT1_.has_dyn_sized_stack, 0
	.set _ZN2at6native32elementwise_kernel_manual_unrollILi128ELi4EZNS0_15gpu_kernel_implIZZZNS0_12_GLOBAL__N_124renorm_scale_factor_implERNS_18TensorIteratorBaseEdENKUlvE_clEvENKUlvE_clEvEUldE_EEvS5_RKT_EUlibE0_EEviT1_.has_recursion, 0
	.set _ZN2at6native32elementwise_kernel_manual_unrollILi128ELi4EZNS0_15gpu_kernel_implIZZZNS0_12_GLOBAL__N_124renorm_scale_factor_implERNS_18TensorIteratorBaseEdENKUlvE_clEvENKUlvE_clEvEUldE_EEvS5_RKT_EUlibE0_EEviT1_.has_indirect_call, 0
	.section	.AMDGPU.csdata,"",@progbits
; Kernel info:
; codeLenInByte = 48568
; TotalNumSgprs: 70
; NumVgprs: 24
; ScratchSize: 0
; MemoryBound: 1
; FloatMode: 240
; IeeeMode: 1
; LDSByteSize: 0 bytes/workgroup (compile time only)
; SGPRBlocks: 0
; VGPRBlocks: 1
; NumSGPRsForWavesPerEU: 70
; NumVGPRsForWavesPerEU: 24
; NamedBarCnt: 0
; Occupancy: 16
; WaveLimiterHint : 1
; COMPUTE_PGM_RSRC2:SCRATCH_EN: 0
; COMPUTE_PGM_RSRC2:USER_SGPR: 2
; COMPUTE_PGM_RSRC2:TRAP_HANDLER: 0
; COMPUTE_PGM_RSRC2:TGID_X_EN: 1
; COMPUTE_PGM_RSRC2:TGID_Y_EN: 0
; COMPUTE_PGM_RSRC2:TGID_Z_EN: 0
; COMPUTE_PGM_RSRC2:TIDIG_COMP_CNT: 0
	.section	.text._ZN2at6native29vectorized_elementwise_kernelILi16EZZZNS0_12_GLOBAL__N_124renorm_scale_factor_implERNS_18TensorIteratorBaseEdENKUlvE_clEvENKUlvE0_clEvEUlfE_St5arrayIPcLm2EEEEviT0_T1_,"axG",@progbits,_ZN2at6native29vectorized_elementwise_kernelILi16EZZZNS0_12_GLOBAL__N_124renorm_scale_factor_implERNS_18TensorIteratorBaseEdENKUlvE_clEvENKUlvE0_clEvEUlfE_St5arrayIPcLm2EEEEviT0_T1_,comdat
	.globl	_ZN2at6native29vectorized_elementwise_kernelILi16EZZZNS0_12_GLOBAL__N_124renorm_scale_factor_implERNS_18TensorIteratorBaseEdENKUlvE_clEvENKUlvE0_clEvEUlfE_St5arrayIPcLm2EEEEviT0_T1_ ; -- Begin function _ZN2at6native29vectorized_elementwise_kernelILi16EZZZNS0_12_GLOBAL__N_124renorm_scale_factor_implERNS_18TensorIteratorBaseEdENKUlvE_clEvENKUlvE0_clEvEUlfE_St5arrayIPcLm2EEEEviT0_T1_
	.p2align	8
	.type	_ZN2at6native29vectorized_elementwise_kernelILi16EZZZNS0_12_GLOBAL__N_124renorm_scale_factor_implERNS_18TensorIteratorBaseEdENKUlvE_clEvENKUlvE0_clEvEUlfE_St5arrayIPcLm2EEEEviT0_T1_,@function
_ZN2at6native29vectorized_elementwise_kernelILi16EZZZNS0_12_GLOBAL__N_124renorm_scale_factor_implERNS_18TensorIteratorBaseEdENKUlvE_clEvENKUlvE0_clEvEUlfE_St5arrayIPcLm2EEEEviT0_T1_: ; @_ZN2at6native29vectorized_elementwise_kernelILi16EZZZNS0_12_GLOBAL__N_124renorm_scale_factor_implERNS_18TensorIteratorBaseEdENKUlvE_clEvENKUlvE0_clEvEUlfE_St5arrayIPcLm2EEEEviT0_T1_
; %bb.0:
	s_clause 0x1
	s_load_b64 s[8:9], s[0:1], 0x0
	s_load_b128 s[4:7], s[0:1], 0x8
	s_wait_xcnt 0x0
	s_bfe_u32 s0, ttmp6, 0x4000c
	s_and_b32 s1, ttmp6, 15
	s_add_co_i32 s0, s0, 1
	s_getreg_b32 s2, hwreg(HW_REG_IB_STS2, 6, 4)
	s_mul_i32 s0, ttmp9, s0
	s_delay_alu instid0(SALU_CYCLE_1) | instskip(SKIP_2) | instid1(SALU_CYCLE_1)
	s_add_co_i32 s1, s1, s0
	s_cmp_eq_u32 s2, 0
	s_cselect_b32 s0, ttmp9, s1
	s_lshl_b32 s2, s0, 10
	s_mov_b32 s0, -1
	s_wait_kmcnt 0x0
	s_sub_co_i32 s8, s8, s2
	s_delay_alu instid0(SALU_CYCLE_1)
	s_cmp_gt_i32 s8, 0x3ff
	s_cbranch_scc0 .LBB8_10
; %bb.1:
	s_ashr_i32 s3, s2, 31
	v_dual_mov_b32 v3, 1.0 :: v_dual_mov_b32 v2, 1.0
	s_lshl_b64 s[0:1], s[2:3], 2
	s_mov_b32 s3, exec_lo
	s_add_nc_u64 s[10:11], s[6:7], s[0:1]
	global_load_b128 v[4:7], v0, s[10:11] scale_offset
	s_wait_loadcnt 0x0
	v_cmpx_lt_f32_e32 s9, v4
	s_cbranch_execz .LBB8_3
; %bb.2:
	v_add_f32_e32 v1, 0x33d6bf95, v4
	s_delay_alu instid0(VALU_DEP_1) | instskip(NEXT) | instid1(VALU_DEP_1)
	v_div_scale_f32 v2, null, v1, v1, s9
	v_rcp_f32_e32 v4, v2
	v_nop
	s_delay_alu instid0(TRANS32_DEP_1) | instskip(NEXT) | instid1(VALU_DEP_1)
	v_fma_f32 v8, -v2, v4, 1.0
	v_fmac_f32_e32 v4, v8, v4
	v_div_scale_f32 v8, vcc_lo, s9, v1, s9
	s_delay_alu instid0(VALU_DEP_1) | instskip(NEXT) | instid1(VALU_DEP_1)
	v_mul_f32_e32 v9, v8, v4
	v_fma_f32 v10, -v2, v9, v8
	s_delay_alu instid0(VALU_DEP_1) | instskip(NEXT) | instid1(VALU_DEP_1)
	v_fmac_f32_e32 v9, v10, v4
	v_fma_f32 v2, -v2, v9, v8
	s_delay_alu instid0(VALU_DEP_1) | instskip(NEXT) | instid1(VALU_DEP_1)
	v_div_fmas_f32 v2, v2, v4, v9
	v_div_fixup_f32 v2, v2, v1, s9
.LBB8_3:
	s_or_b32 exec_lo, exec_lo, s3
	s_delay_alu instid0(SALU_CYCLE_1)
	s_mov_b32 s3, exec_lo
	v_cmpx_lt_f32_e32 s9, v5
	s_cbranch_execz .LBB8_5
; %bb.4:
	v_add_f32_e32 v1, 0x33d6bf95, v5
	s_delay_alu instid0(VALU_DEP_1) | instskip(NEXT) | instid1(VALU_DEP_1)
	v_div_scale_f32 v3, null, v1, v1, s9
	v_rcp_f32_e32 v4, v3
	v_nop
	s_delay_alu instid0(TRANS32_DEP_1) | instskip(NEXT) | instid1(VALU_DEP_1)
	v_fma_f32 v5, -v3, v4, 1.0
	v_fmac_f32_e32 v4, v5, v4
	v_div_scale_f32 v5, vcc_lo, s9, v1, s9
	s_delay_alu instid0(VALU_DEP_1) | instskip(NEXT) | instid1(VALU_DEP_1)
	v_mul_f32_e32 v8, v5, v4
	v_fma_f32 v9, -v3, v8, v5
	s_delay_alu instid0(VALU_DEP_1) | instskip(NEXT) | instid1(VALU_DEP_1)
	v_fmac_f32_e32 v8, v9, v4
	v_fma_f32 v3, -v3, v8, v5
	s_delay_alu instid0(VALU_DEP_1) | instskip(NEXT) | instid1(VALU_DEP_1)
	v_div_fmas_f32 v3, v3, v4, v8
	v_div_fixup_f32 v3, v3, v1, s9
.LBB8_5:
	s_or_b32 exec_lo, exec_lo, s3
	v_dual_mov_b32 v5, 1.0 :: v_dual_mov_b32 v4, 1.0
	s_mov_b32 s3, exec_lo
	v_cmpx_lt_f32_e32 s9, v6
	s_cbranch_execz .LBB8_7
; %bb.6:
	v_add_f32_e32 v1, 0x33d6bf95, v6
	s_delay_alu instid0(VALU_DEP_1) | instskip(NEXT) | instid1(VALU_DEP_1)
	v_div_scale_f32 v4, null, v1, v1, s9
	v_rcp_f32_e32 v6, v4
	v_nop
	s_delay_alu instid0(TRANS32_DEP_1) | instskip(NEXT) | instid1(VALU_DEP_1)
	v_fma_f32 v8, -v4, v6, 1.0
	v_fmac_f32_e32 v6, v8, v6
	v_div_scale_f32 v8, vcc_lo, s9, v1, s9
	s_delay_alu instid0(VALU_DEP_1) | instskip(NEXT) | instid1(VALU_DEP_1)
	v_mul_f32_e32 v9, v8, v6
	v_fma_f32 v10, -v4, v9, v8
	s_delay_alu instid0(VALU_DEP_1) | instskip(NEXT) | instid1(VALU_DEP_1)
	v_fmac_f32_e32 v9, v10, v6
	v_fma_f32 v4, -v4, v9, v8
	s_delay_alu instid0(VALU_DEP_1) | instskip(NEXT) | instid1(VALU_DEP_1)
	v_div_fmas_f32 v4, v4, v6, v9
	v_div_fixup_f32 v4, v4, v1, s9
.LBB8_7:
	s_or_b32 exec_lo, exec_lo, s3
	s_delay_alu instid0(SALU_CYCLE_1)
	s_mov_b32 s3, exec_lo
	v_cmpx_lt_f32_e32 s9, v7
	s_cbranch_execz .LBB8_9
; %bb.8:
	v_add_f32_e32 v1, 0x33d6bf95, v7
	s_delay_alu instid0(VALU_DEP_1) | instskip(NEXT) | instid1(VALU_DEP_1)
	v_div_scale_f32 v5, null, v1, v1, s9
	v_rcp_f32_e32 v6, v5
	v_nop
	s_delay_alu instid0(TRANS32_DEP_1) | instskip(NEXT) | instid1(VALU_DEP_1)
	v_fma_f32 v7, -v5, v6, 1.0
	v_fmac_f32_e32 v6, v7, v6
	v_div_scale_f32 v7, vcc_lo, s9, v1, s9
	s_delay_alu instid0(VALU_DEP_1) | instskip(NEXT) | instid1(VALU_DEP_1)
	v_mul_f32_e32 v8, v7, v6
	v_fma_f32 v9, -v5, v8, v7
	s_delay_alu instid0(VALU_DEP_1) | instskip(NEXT) | instid1(VALU_DEP_1)
	v_fmac_f32_e32 v8, v9, v6
	v_fma_f32 v5, -v5, v8, v7
	s_delay_alu instid0(VALU_DEP_1) | instskip(NEXT) | instid1(VALU_DEP_1)
	v_div_fmas_f32 v5, v5, v6, v8
	v_div_fixup_f32 v5, v5, v1, s9
.LBB8_9:
	s_or_b32 exec_lo, exec_lo, s3
	s_add_nc_u64 s[10:11], s[4:5], s[0:1]
	s_mov_b32 s0, 0
	global_store_b128 v0, v[2:5], s[10:11] scale_offset
.LBB8_10:
	s_and_b32 vcc_lo, exec_lo, s0
	s_cbranch_vccz .LBB8_37
; %bb.11:
	v_cmp_gt_i32_e64 s0, s8, v0
	s_wait_xcnt 0x0
	v_dual_mov_b32 v9, 0 :: v_dual_bitop2_b32 v5, s2, v0 bitop3:0x54
	v_or_b32_e32 v6, 0x100, v0
	v_dual_mov_b32 v10, 0 :: v_dual_mov_b32 v1, v0
	s_and_saveexec_b32 s1, s0
	s_cbranch_execz .LBB8_13
; %bb.12:
	global_load_b32 v10, v5, s[6:7] scale_offset
	v_or_b32_e32 v1, 0x100, v0
.LBB8_13:
	s_wait_xcnt 0x0
	s_or_b32 exec_lo, exec_lo, s1
	s_delay_alu instid0(SALU_CYCLE_1) | instskip(NEXT) | instid1(VALU_DEP_1)
	s_mov_b32 s1, exec_lo
	v_cmpx_gt_i32_e64 s8, v1
	s_cbranch_execz .LBB8_15
; %bb.14:
	v_add_nc_u32_e32 v2, s2, v1
	v_add_nc_u32_e32 v1, 0x100, v1
	global_load_b32 v9, v2, s[6:7] scale_offset
.LBB8_15:
	s_wait_xcnt 0x0
	s_or_b32 exec_lo, exec_lo, s1
	v_dual_mov_b32 v7, 0 :: v_dual_mov_b32 v8, 0
	s_mov_b32 s1, exec_lo
	v_cmpx_gt_i32_e64 s8, v1
	s_cbranch_execz .LBB8_17
; %bb.16:
	v_add_nc_u32_e32 v2, s2, v1
	v_add_nc_u32_e32 v1, 0x100, v1
	global_load_b32 v8, v2, s[6:7] scale_offset
.LBB8_17:
	s_wait_xcnt 0x0
	s_or_b32 exec_lo, exec_lo, s1
	s_delay_alu instid0(SALU_CYCLE_1)
	s_mov_b32 s1, exec_lo
	v_cmpx_gt_i32_e64 s8, v1
	s_cbranch_execz .LBB8_19
; %bb.18:
	v_add_nc_u32_e32 v1, s2, v1
	global_load_b32 v7, v1, s[6:7] scale_offset
.LBB8_19:
	s_wait_xcnt 0x0
	s_or_b32 exec_lo, exec_lo, s1
	v_mov_b32_e32 v2, 0
	s_delay_alu instid0(VALU_DEP_1)
	v_dual_mov_b32 v1, v2 :: v_dual_mov_b32 v4, v2
	v_mov_b32_e32 v3, v2
	s_and_saveexec_b32 s1, s0
	s_cbranch_execz .LBB8_23
; %bb.20:
	v_mov_b32_e32 v2, 1.0
	s_mov_b32 s3, exec_lo
	s_wait_loadcnt 0x0
	v_cmpx_lt_f32_e32 s9, v10
	s_cbranch_execz .LBB8_22
; %bb.21:
	v_add_f32_e32 v1, 0x33d6bf95, v10
	s_delay_alu instid0(VALU_DEP_1) | instskip(NEXT) | instid1(VALU_DEP_1)
	v_div_scale_f32 v2, null, v1, v1, s9
	v_rcp_f32_e32 v3, v2
	v_nop
	s_delay_alu instid0(TRANS32_DEP_1) | instskip(NEXT) | instid1(VALU_DEP_1)
	v_fma_f32 v4, -v2, v3, 1.0
	v_fmac_f32_e32 v3, v4, v3
	v_div_scale_f32 v4, vcc_lo, s9, v1, s9
	s_delay_alu instid0(VALU_DEP_1) | instskip(NEXT) | instid1(VALU_DEP_1)
	v_mul_f32_e32 v10, v4, v3
	v_fma_f32 v11, -v2, v10, v4
	s_delay_alu instid0(VALU_DEP_1) | instskip(NEXT) | instid1(VALU_DEP_1)
	v_fmac_f32_e32 v10, v11, v3
	v_fma_f32 v2, -v2, v10, v4
	s_delay_alu instid0(VALU_DEP_1) | instskip(NEXT) | instid1(VALU_DEP_1)
	v_div_fmas_f32 v2, v2, v3, v10
	v_div_fixup_f32 v2, v2, v1, s9
.LBB8_22:
	s_or_b32 exec_lo, exec_lo, s3
	v_mov_b32_e32 v1, 0
	s_delay_alu instid0(VALU_DEP_1)
	v_dual_mov_b32 v4, v1 :: v_dual_mov_b32 v3, v1
.LBB8_23:
	s_or_b32 exec_lo, exec_lo, s1
	s_delay_alu instid0(SALU_CYCLE_1)
	s_mov_b32 s1, exec_lo
	v_cmpx_gt_i32_e64 s8, v6
	s_cbranch_execz .LBB8_27
; %bb.24:
	v_mov_b32_e32 v1, 1.0
	s_mov_b32 s3, exec_lo
	s_wait_loadcnt 0x0
	v_cmpx_lt_f32_e32 s9, v9
	s_cbranch_execz .LBB8_26
; %bb.25:
	v_add_f32_e32 v1, 0x33d6bf95, v9
	s_delay_alu instid0(VALU_DEP_1) | instskip(NEXT) | instid1(VALU_DEP_1)
	v_div_scale_f32 v9, null, v1, v1, s9
	v_rcp_f32_e32 v10, v9
	v_nop
	s_delay_alu instid0(TRANS32_DEP_1) | instskip(NEXT) | instid1(VALU_DEP_1)
	v_fma_f32 v11, -v9, v10, 1.0
	v_fmac_f32_e32 v10, v11, v10
	v_div_scale_f32 v11, vcc_lo, s9, v1, s9
	s_delay_alu instid0(VALU_DEP_1) | instskip(NEXT) | instid1(VALU_DEP_1)
	v_mul_f32_e32 v12, v11, v10
	v_fma_f32 v13, -v9, v12, v11
	s_delay_alu instid0(VALU_DEP_1) | instskip(NEXT) | instid1(VALU_DEP_1)
	v_fmac_f32_e32 v12, v13, v10
	v_fma_f32 v9, -v9, v12, v11
	s_delay_alu instid0(VALU_DEP_1) | instskip(NEXT) | instid1(VALU_DEP_1)
	v_div_fmas_f32 v9, v9, v10, v12
	v_div_fixup_f32 v1, v9, v1, s9
.LBB8_26:
	s_or_b32 exec_lo, exec_lo, s3
.LBB8_27:
	s_delay_alu instid0(SALU_CYCLE_1) | instskip(SKIP_3) | instid1(VALU_DEP_1)
	s_or_b32 exec_lo, exec_lo, s1
	s_wait_loadcnt 0x0
	v_or_b32_e32 v9, 0x200, v0
	s_mov_b32 s1, exec_lo
	v_cmpx_gt_i32_e64 s8, v9
	s_cbranch_execz .LBB8_31
; %bb.28:
	v_mov_b32_e32 v4, 1.0
	s_mov_b32 s3, exec_lo
	v_cmpx_lt_f32_e32 s9, v8
	s_cbranch_execz .LBB8_30
; %bb.29:
	v_add_f32_e32 v4, 0x33d6bf95, v8
	s_delay_alu instid0(VALU_DEP_1) | instskip(NEXT) | instid1(VALU_DEP_1)
	v_div_scale_f32 v8, null, v4, v4, s9
	v_rcp_f32_e32 v9, v8
	v_nop
	s_delay_alu instid0(TRANS32_DEP_1) | instskip(NEXT) | instid1(VALU_DEP_1)
	v_fma_f32 v10, -v8, v9, 1.0
	v_fmac_f32_e32 v9, v10, v9
	v_div_scale_f32 v10, vcc_lo, s9, v4, s9
	s_delay_alu instid0(VALU_DEP_1) | instskip(NEXT) | instid1(VALU_DEP_1)
	v_mul_f32_e32 v11, v10, v9
	v_fma_f32 v12, -v8, v11, v10
	s_delay_alu instid0(VALU_DEP_1) | instskip(NEXT) | instid1(VALU_DEP_1)
	v_fmac_f32_e32 v11, v12, v9
	v_fma_f32 v8, -v8, v11, v10
	s_delay_alu instid0(VALU_DEP_1) | instskip(NEXT) | instid1(VALU_DEP_1)
	v_div_fmas_f32 v8, v8, v9, v11
	v_div_fixup_f32 v4, v8, v4, s9
.LBB8_30:
	s_or_b32 exec_lo, exec_lo, s3
.LBB8_31:
	s_delay_alu instid0(SALU_CYCLE_1) | instskip(SKIP_2) | instid1(VALU_DEP_1)
	s_or_b32 exec_lo, exec_lo, s1
	v_or_b32_e32 v8, 0x300, v0
	s_mov_b32 s1, exec_lo
	v_cmpx_gt_i32_e64 s8, v8
	s_cbranch_execnz .LBB8_38
; %bb.32:
	s_or_b32 exec_lo, exec_lo, s1
	s_and_saveexec_b32 s1, s0
	s_delay_alu instid0(SALU_CYCLE_1)
	s_xor_b32 s0, exec_lo, s1
	s_cbranch_execnz .LBB8_41
.LBB8_33:
	s_or_b32 exec_lo, exec_lo, s0
	s_delay_alu instid0(SALU_CYCLE_1)
	s_mov_b32 s0, exec_lo
	v_cmpx_gt_i32_e64 s8, v0
	s_cbranch_execnz .LBB8_42
.LBB8_34:
	s_or_b32 exec_lo, exec_lo, s0
	s_delay_alu instid0(SALU_CYCLE_1)
	s_mov_b32 s0, exec_lo
	v_cmpx_gt_i32_e64 s8, v0
	s_cbranch_execnz .LBB8_43
.LBB8_35:
	s_or_b32 exec_lo, exec_lo, s0
	s_delay_alu instid0(SALU_CYCLE_1)
	s_mov_b32 s0, exec_lo
	v_cmpx_gt_i32_e64 s8, v0
	s_cbranch_execz .LBB8_37
.LBB8_36:
	v_add_nc_u32_e32 v0, s2, v0
	global_store_b32 v0, v3, s[4:5] scale_offset
.LBB8_37:
	s_endpgm
.LBB8_38:
	v_mov_b32_e32 v3, 1.0
	s_mov_b32 s3, exec_lo
	v_cmpx_lt_f32_e32 s9, v7
	s_cbranch_execz .LBB8_40
; %bb.39:
	v_add_f32_e32 v3, 0x33d6bf95, v7
	s_delay_alu instid0(VALU_DEP_1) | instskip(NEXT) | instid1(VALU_DEP_1)
	v_div_scale_f32 v7, null, v3, v3, s9
	v_rcp_f32_e32 v8, v7
	v_nop
	s_delay_alu instid0(TRANS32_DEP_1) | instskip(NEXT) | instid1(VALU_DEP_1)
	v_fma_f32 v9, -v7, v8, 1.0
	v_fmac_f32_e32 v8, v9, v8
	v_div_scale_f32 v9, vcc_lo, s9, v3, s9
	s_delay_alu instid0(VALU_DEP_1) | instskip(NEXT) | instid1(VALU_DEP_1)
	v_mul_f32_e32 v10, v9, v8
	v_fma_f32 v11, -v7, v10, v9
	s_delay_alu instid0(VALU_DEP_1) | instskip(NEXT) | instid1(VALU_DEP_1)
	v_fmac_f32_e32 v10, v11, v8
	v_fma_f32 v7, -v7, v10, v9
	s_delay_alu instid0(VALU_DEP_1) | instskip(NEXT) | instid1(VALU_DEP_1)
	v_div_fmas_f32 v7, v7, v8, v10
	v_div_fixup_f32 v3, v7, v3, s9
.LBB8_40:
	s_or_b32 exec_lo, exec_lo, s3
	s_delay_alu instid0(SALU_CYCLE_1) | instskip(SKIP_1) | instid1(SALU_CYCLE_1)
	s_or_b32 exec_lo, exec_lo, s1
	s_and_saveexec_b32 s1, s0
	s_xor_b32 s0, exec_lo, s1
	s_cbranch_execz .LBB8_33
.LBB8_41:
	v_mov_b32_e32 v0, v6
	global_store_b32 v5, v2, s[4:5] scale_offset
	s_wait_xcnt 0x0
	s_or_b32 exec_lo, exec_lo, s0
	s_delay_alu instid0(SALU_CYCLE_1)
	s_mov_b32 s0, exec_lo
	v_cmpx_gt_i32_e64 s8, v0
	s_cbranch_execz .LBB8_34
.LBB8_42:
	v_add_nc_u32_e32 v2, s2, v0
	v_add_nc_u32_e32 v0, 0x100, v0
	global_store_b32 v2, v1, s[4:5] scale_offset
	s_wait_xcnt 0x0
	s_or_b32 exec_lo, exec_lo, s0
	s_delay_alu instid0(SALU_CYCLE_1)
	s_mov_b32 s0, exec_lo
	v_cmpx_gt_i32_e64 s8, v0
	s_cbranch_execz .LBB8_35
.LBB8_43:
	v_add_nc_u32_e32 v1, s2, v0
	v_add_nc_u32_e32 v0, 0x100, v0
	global_store_b32 v1, v4, s[4:5] scale_offset
	s_wait_xcnt 0x0
	s_or_b32 exec_lo, exec_lo, s0
	s_delay_alu instid0(SALU_CYCLE_1)
	s_mov_b32 s0, exec_lo
	v_cmpx_gt_i32_e64 s8, v0
	s_cbranch_execnz .LBB8_36
	s_branch .LBB8_37
	.section	.rodata,"a",@progbits
	.p2align	6, 0x0
	.amdhsa_kernel _ZN2at6native29vectorized_elementwise_kernelILi16EZZZNS0_12_GLOBAL__N_124renorm_scale_factor_implERNS_18TensorIteratorBaseEdENKUlvE_clEvENKUlvE0_clEvEUlfE_St5arrayIPcLm2EEEEviT0_T1_
		.amdhsa_group_segment_fixed_size 0
		.amdhsa_private_segment_fixed_size 0
		.amdhsa_kernarg_size 24
		.amdhsa_user_sgpr_count 2
		.amdhsa_user_sgpr_dispatch_ptr 0
		.amdhsa_user_sgpr_queue_ptr 0
		.amdhsa_user_sgpr_kernarg_segment_ptr 1
		.amdhsa_user_sgpr_dispatch_id 0
		.amdhsa_user_sgpr_kernarg_preload_length 0
		.amdhsa_user_sgpr_kernarg_preload_offset 0
		.amdhsa_user_sgpr_private_segment_size 0
		.amdhsa_wavefront_size32 1
		.amdhsa_uses_dynamic_stack 0
		.amdhsa_enable_private_segment 0
		.amdhsa_system_sgpr_workgroup_id_x 1
		.amdhsa_system_sgpr_workgroup_id_y 0
		.amdhsa_system_sgpr_workgroup_id_z 0
		.amdhsa_system_sgpr_workgroup_info 0
		.amdhsa_system_vgpr_workitem_id 0
		.amdhsa_next_free_vgpr 14
		.amdhsa_next_free_sgpr 12
		.amdhsa_named_barrier_count 0
		.amdhsa_reserve_vcc 1
		.amdhsa_float_round_mode_32 0
		.amdhsa_float_round_mode_16_64 0
		.amdhsa_float_denorm_mode_32 3
		.amdhsa_float_denorm_mode_16_64 3
		.amdhsa_fp16_overflow 0
		.amdhsa_memory_ordered 1
		.amdhsa_forward_progress 1
		.amdhsa_inst_pref_size 15
		.amdhsa_round_robin_scheduling 0
		.amdhsa_exception_fp_ieee_invalid_op 0
		.amdhsa_exception_fp_denorm_src 0
		.amdhsa_exception_fp_ieee_div_zero 0
		.amdhsa_exception_fp_ieee_overflow 0
		.amdhsa_exception_fp_ieee_underflow 0
		.amdhsa_exception_fp_ieee_inexact 0
		.amdhsa_exception_int_div_zero 0
	.end_amdhsa_kernel
	.section	.text._ZN2at6native29vectorized_elementwise_kernelILi16EZZZNS0_12_GLOBAL__N_124renorm_scale_factor_implERNS_18TensorIteratorBaseEdENKUlvE_clEvENKUlvE0_clEvEUlfE_St5arrayIPcLm2EEEEviT0_T1_,"axG",@progbits,_ZN2at6native29vectorized_elementwise_kernelILi16EZZZNS0_12_GLOBAL__N_124renorm_scale_factor_implERNS_18TensorIteratorBaseEdENKUlvE_clEvENKUlvE0_clEvEUlfE_St5arrayIPcLm2EEEEviT0_T1_,comdat
.Lfunc_end8:
	.size	_ZN2at6native29vectorized_elementwise_kernelILi16EZZZNS0_12_GLOBAL__N_124renorm_scale_factor_implERNS_18TensorIteratorBaseEdENKUlvE_clEvENKUlvE0_clEvEUlfE_St5arrayIPcLm2EEEEviT0_T1_, .Lfunc_end8-_ZN2at6native29vectorized_elementwise_kernelILi16EZZZNS0_12_GLOBAL__N_124renorm_scale_factor_implERNS_18TensorIteratorBaseEdENKUlvE_clEvENKUlvE0_clEvEUlfE_St5arrayIPcLm2EEEEviT0_T1_
                                        ; -- End function
	.set _ZN2at6native29vectorized_elementwise_kernelILi16EZZZNS0_12_GLOBAL__N_124renorm_scale_factor_implERNS_18TensorIteratorBaseEdENKUlvE_clEvENKUlvE0_clEvEUlfE_St5arrayIPcLm2EEEEviT0_T1_.num_vgpr, 14
	.set _ZN2at6native29vectorized_elementwise_kernelILi16EZZZNS0_12_GLOBAL__N_124renorm_scale_factor_implERNS_18TensorIteratorBaseEdENKUlvE_clEvENKUlvE0_clEvEUlfE_St5arrayIPcLm2EEEEviT0_T1_.num_agpr, 0
	.set _ZN2at6native29vectorized_elementwise_kernelILi16EZZZNS0_12_GLOBAL__N_124renorm_scale_factor_implERNS_18TensorIteratorBaseEdENKUlvE_clEvENKUlvE0_clEvEUlfE_St5arrayIPcLm2EEEEviT0_T1_.numbered_sgpr, 12
	.set _ZN2at6native29vectorized_elementwise_kernelILi16EZZZNS0_12_GLOBAL__N_124renorm_scale_factor_implERNS_18TensorIteratorBaseEdENKUlvE_clEvENKUlvE0_clEvEUlfE_St5arrayIPcLm2EEEEviT0_T1_.num_named_barrier, 0
	.set _ZN2at6native29vectorized_elementwise_kernelILi16EZZZNS0_12_GLOBAL__N_124renorm_scale_factor_implERNS_18TensorIteratorBaseEdENKUlvE_clEvENKUlvE0_clEvEUlfE_St5arrayIPcLm2EEEEviT0_T1_.private_seg_size, 0
	.set _ZN2at6native29vectorized_elementwise_kernelILi16EZZZNS0_12_GLOBAL__N_124renorm_scale_factor_implERNS_18TensorIteratorBaseEdENKUlvE_clEvENKUlvE0_clEvEUlfE_St5arrayIPcLm2EEEEviT0_T1_.uses_vcc, 1
	.set _ZN2at6native29vectorized_elementwise_kernelILi16EZZZNS0_12_GLOBAL__N_124renorm_scale_factor_implERNS_18TensorIteratorBaseEdENKUlvE_clEvENKUlvE0_clEvEUlfE_St5arrayIPcLm2EEEEviT0_T1_.uses_flat_scratch, 0
	.set _ZN2at6native29vectorized_elementwise_kernelILi16EZZZNS0_12_GLOBAL__N_124renorm_scale_factor_implERNS_18TensorIteratorBaseEdENKUlvE_clEvENKUlvE0_clEvEUlfE_St5arrayIPcLm2EEEEviT0_T1_.has_dyn_sized_stack, 0
	.set _ZN2at6native29vectorized_elementwise_kernelILi16EZZZNS0_12_GLOBAL__N_124renorm_scale_factor_implERNS_18TensorIteratorBaseEdENKUlvE_clEvENKUlvE0_clEvEUlfE_St5arrayIPcLm2EEEEviT0_T1_.has_recursion, 0
	.set _ZN2at6native29vectorized_elementwise_kernelILi16EZZZNS0_12_GLOBAL__N_124renorm_scale_factor_implERNS_18TensorIteratorBaseEdENKUlvE_clEvENKUlvE0_clEvEUlfE_St5arrayIPcLm2EEEEviT0_T1_.has_indirect_call, 0
	.section	.AMDGPU.csdata,"",@progbits
; Kernel info:
; codeLenInByte = 1808
; TotalNumSgprs: 14
; NumVgprs: 14
; ScratchSize: 0
; MemoryBound: 0
; FloatMode: 240
; IeeeMode: 1
; LDSByteSize: 0 bytes/workgroup (compile time only)
; SGPRBlocks: 0
; VGPRBlocks: 0
; NumSGPRsForWavesPerEU: 14
; NumVGPRsForWavesPerEU: 14
; NamedBarCnt: 0
; Occupancy: 16
; WaveLimiterHint : 0
; COMPUTE_PGM_RSRC2:SCRATCH_EN: 0
; COMPUTE_PGM_RSRC2:USER_SGPR: 2
; COMPUTE_PGM_RSRC2:TRAP_HANDLER: 0
; COMPUTE_PGM_RSRC2:TGID_X_EN: 1
; COMPUTE_PGM_RSRC2:TGID_Y_EN: 0
; COMPUTE_PGM_RSRC2:TGID_Z_EN: 0
; COMPUTE_PGM_RSRC2:TIDIG_COMP_CNT: 0
	.section	.text._ZN2at6native29vectorized_elementwise_kernelILi8EZZZNS0_12_GLOBAL__N_124renorm_scale_factor_implERNS_18TensorIteratorBaseEdENKUlvE_clEvENKUlvE0_clEvEUlfE_St5arrayIPcLm2EEEEviT0_T1_,"axG",@progbits,_ZN2at6native29vectorized_elementwise_kernelILi8EZZZNS0_12_GLOBAL__N_124renorm_scale_factor_implERNS_18TensorIteratorBaseEdENKUlvE_clEvENKUlvE0_clEvEUlfE_St5arrayIPcLm2EEEEviT0_T1_,comdat
	.globl	_ZN2at6native29vectorized_elementwise_kernelILi8EZZZNS0_12_GLOBAL__N_124renorm_scale_factor_implERNS_18TensorIteratorBaseEdENKUlvE_clEvENKUlvE0_clEvEUlfE_St5arrayIPcLm2EEEEviT0_T1_ ; -- Begin function _ZN2at6native29vectorized_elementwise_kernelILi8EZZZNS0_12_GLOBAL__N_124renorm_scale_factor_implERNS_18TensorIteratorBaseEdENKUlvE_clEvENKUlvE0_clEvEUlfE_St5arrayIPcLm2EEEEviT0_T1_
	.p2align	8
	.type	_ZN2at6native29vectorized_elementwise_kernelILi8EZZZNS0_12_GLOBAL__N_124renorm_scale_factor_implERNS_18TensorIteratorBaseEdENKUlvE_clEvENKUlvE0_clEvEUlfE_St5arrayIPcLm2EEEEviT0_T1_,@function
_ZN2at6native29vectorized_elementwise_kernelILi8EZZZNS0_12_GLOBAL__N_124renorm_scale_factor_implERNS_18TensorIteratorBaseEdENKUlvE_clEvENKUlvE0_clEvEUlfE_St5arrayIPcLm2EEEEviT0_T1_: ; @_ZN2at6native29vectorized_elementwise_kernelILi8EZZZNS0_12_GLOBAL__N_124renorm_scale_factor_implERNS_18TensorIteratorBaseEdENKUlvE_clEvENKUlvE0_clEvEUlfE_St5arrayIPcLm2EEEEviT0_T1_
; %bb.0:
	s_clause 0x1
	s_load_b64 s[8:9], s[0:1], 0x0
	s_load_b128 s[4:7], s[0:1], 0x8
	s_wait_xcnt 0x0
	s_bfe_u32 s0, ttmp6, 0x4000c
	s_and_b32 s1, ttmp6, 15
	s_add_co_i32 s0, s0, 1
	s_getreg_b32 s2, hwreg(HW_REG_IB_STS2, 6, 4)
	s_mul_i32 s0, ttmp9, s0
	s_delay_alu instid0(SALU_CYCLE_1) | instskip(SKIP_2) | instid1(SALU_CYCLE_1)
	s_add_co_i32 s1, s1, s0
	s_cmp_eq_u32 s2, 0
	s_cselect_b32 s0, ttmp9, s1
	s_lshl_b32 s2, s0, 10
	s_mov_b32 s0, -1
	s_wait_kmcnt 0x0
	s_sub_co_i32 s8, s8, s2
	s_delay_alu instid0(SALU_CYCLE_1)
	s_cmp_gt_i32 s8, 0x3ff
	s_cbranch_scc0 .LBB9_10
; %bb.1:
	s_ashr_i32 s3, s2, 31
	v_dual_mov_b32 v3, 1.0 :: v_dual_mov_b32 v2, 1.0
	s_lshl_b64 s[0:1], s[2:3], 2
	s_mov_b32 s3, exec_lo
	s_add_nc_u64 s[10:11], s[6:7], s[0:1]
	global_load_b128 v[4:7], v0, s[10:11] scale_offset
	s_wait_loadcnt 0x0
	v_cmpx_lt_f32_e32 s9, v4
	s_cbranch_execz .LBB9_3
; %bb.2:
	v_add_f32_e32 v1, 0x33d6bf95, v4
	s_delay_alu instid0(VALU_DEP_1) | instskip(NEXT) | instid1(VALU_DEP_1)
	v_div_scale_f32 v2, null, v1, v1, s9
	v_rcp_f32_e32 v4, v2
	v_nop
	s_delay_alu instid0(TRANS32_DEP_1) | instskip(NEXT) | instid1(VALU_DEP_1)
	v_fma_f32 v8, -v2, v4, 1.0
	v_fmac_f32_e32 v4, v8, v4
	v_div_scale_f32 v8, vcc_lo, s9, v1, s9
	s_delay_alu instid0(VALU_DEP_1) | instskip(NEXT) | instid1(VALU_DEP_1)
	v_mul_f32_e32 v9, v8, v4
	v_fma_f32 v10, -v2, v9, v8
	s_delay_alu instid0(VALU_DEP_1) | instskip(NEXT) | instid1(VALU_DEP_1)
	v_fmac_f32_e32 v9, v10, v4
	v_fma_f32 v2, -v2, v9, v8
	s_delay_alu instid0(VALU_DEP_1) | instskip(NEXT) | instid1(VALU_DEP_1)
	v_div_fmas_f32 v2, v2, v4, v9
	v_div_fixup_f32 v2, v2, v1, s9
.LBB9_3:
	s_or_b32 exec_lo, exec_lo, s3
	s_delay_alu instid0(SALU_CYCLE_1)
	s_mov_b32 s3, exec_lo
	v_cmpx_lt_f32_e32 s9, v5
	s_cbranch_execz .LBB9_5
; %bb.4:
	v_add_f32_e32 v1, 0x33d6bf95, v5
	s_delay_alu instid0(VALU_DEP_1) | instskip(NEXT) | instid1(VALU_DEP_1)
	v_div_scale_f32 v3, null, v1, v1, s9
	v_rcp_f32_e32 v4, v3
	v_nop
	s_delay_alu instid0(TRANS32_DEP_1) | instskip(NEXT) | instid1(VALU_DEP_1)
	v_fma_f32 v5, -v3, v4, 1.0
	v_fmac_f32_e32 v4, v5, v4
	v_div_scale_f32 v5, vcc_lo, s9, v1, s9
	s_delay_alu instid0(VALU_DEP_1) | instskip(NEXT) | instid1(VALU_DEP_1)
	v_mul_f32_e32 v8, v5, v4
	v_fma_f32 v9, -v3, v8, v5
	s_delay_alu instid0(VALU_DEP_1) | instskip(NEXT) | instid1(VALU_DEP_1)
	v_fmac_f32_e32 v8, v9, v4
	v_fma_f32 v3, -v3, v8, v5
	s_delay_alu instid0(VALU_DEP_1) | instskip(NEXT) | instid1(VALU_DEP_1)
	v_div_fmas_f32 v3, v3, v4, v8
	v_div_fixup_f32 v3, v3, v1, s9
.LBB9_5:
	s_or_b32 exec_lo, exec_lo, s3
	v_dual_mov_b32 v5, 1.0 :: v_dual_mov_b32 v4, 1.0
	s_mov_b32 s3, exec_lo
	v_cmpx_lt_f32_e32 s9, v6
	s_cbranch_execz .LBB9_7
; %bb.6:
	v_add_f32_e32 v1, 0x33d6bf95, v6
	s_delay_alu instid0(VALU_DEP_1) | instskip(NEXT) | instid1(VALU_DEP_1)
	v_div_scale_f32 v4, null, v1, v1, s9
	v_rcp_f32_e32 v6, v4
	v_nop
	s_delay_alu instid0(TRANS32_DEP_1) | instskip(NEXT) | instid1(VALU_DEP_1)
	v_fma_f32 v8, -v4, v6, 1.0
	v_fmac_f32_e32 v6, v8, v6
	v_div_scale_f32 v8, vcc_lo, s9, v1, s9
	s_delay_alu instid0(VALU_DEP_1) | instskip(NEXT) | instid1(VALU_DEP_1)
	v_mul_f32_e32 v9, v8, v6
	v_fma_f32 v10, -v4, v9, v8
	s_delay_alu instid0(VALU_DEP_1) | instskip(NEXT) | instid1(VALU_DEP_1)
	v_fmac_f32_e32 v9, v10, v6
	v_fma_f32 v4, -v4, v9, v8
	s_delay_alu instid0(VALU_DEP_1) | instskip(NEXT) | instid1(VALU_DEP_1)
	v_div_fmas_f32 v4, v4, v6, v9
	v_div_fixup_f32 v4, v4, v1, s9
.LBB9_7:
	s_or_b32 exec_lo, exec_lo, s3
	s_delay_alu instid0(SALU_CYCLE_1)
	s_mov_b32 s3, exec_lo
	v_cmpx_lt_f32_e32 s9, v7
	s_cbranch_execz .LBB9_9
; %bb.8:
	v_add_f32_e32 v1, 0x33d6bf95, v7
	s_delay_alu instid0(VALU_DEP_1) | instskip(NEXT) | instid1(VALU_DEP_1)
	v_div_scale_f32 v5, null, v1, v1, s9
	v_rcp_f32_e32 v6, v5
	v_nop
	s_delay_alu instid0(TRANS32_DEP_1) | instskip(NEXT) | instid1(VALU_DEP_1)
	v_fma_f32 v7, -v5, v6, 1.0
	v_fmac_f32_e32 v6, v7, v6
	v_div_scale_f32 v7, vcc_lo, s9, v1, s9
	s_delay_alu instid0(VALU_DEP_1) | instskip(NEXT) | instid1(VALU_DEP_1)
	v_mul_f32_e32 v8, v7, v6
	v_fma_f32 v9, -v5, v8, v7
	s_delay_alu instid0(VALU_DEP_1) | instskip(NEXT) | instid1(VALU_DEP_1)
	v_fmac_f32_e32 v8, v9, v6
	v_fma_f32 v5, -v5, v8, v7
	s_delay_alu instid0(VALU_DEP_1) | instskip(NEXT) | instid1(VALU_DEP_1)
	v_div_fmas_f32 v5, v5, v6, v8
	v_div_fixup_f32 v5, v5, v1, s9
.LBB9_9:
	s_or_b32 exec_lo, exec_lo, s3
	s_add_nc_u64 s[10:11], s[4:5], s[0:1]
	s_mov_b32 s0, 0
	global_store_b128 v0, v[2:5], s[10:11] scale_offset
.LBB9_10:
	s_and_b32 vcc_lo, exec_lo, s0
	s_cbranch_vccz .LBB9_37
; %bb.11:
	v_cmp_gt_i32_e64 s0, s8, v0
	s_wait_xcnt 0x0
	v_dual_mov_b32 v9, 0 :: v_dual_bitop2_b32 v5, s2, v0 bitop3:0x54
	v_or_b32_e32 v6, 0x100, v0
	v_dual_mov_b32 v10, 0 :: v_dual_mov_b32 v1, v0
	s_and_saveexec_b32 s1, s0
	s_cbranch_execz .LBB9_13
; %bb.12:
	global_load_b32 v10, v5, s[6:7] scale_offset
	v_or_b32_e32 v1, 0x100, v0
.LBB9_13:
	s_wait_xcnt 0x0
	s_or_b32 exec_lo, exec_lo, s1
	s_delay_alu instid0(SALU_CYCLE_1) | instskip(NEXT) | instid1(VALU_DEP_1)
	s_mov_b32 s1, exec_lo
	v_cmpx_gt_i32_e64 s8, v1
	s_cbranch_execz .LBB9_15
; %bb.14:
	v_add_nc_u32_e32 v2, s2, v1
	v_add_nc_u32_e32 v1, 0x100, v1
	global_load_b32 v9, v2, s[6:7] scale_offset
.LBB9_15:
	s_wait_xcnt 0x0
	s_or_b32 exec_lo, exec_lo, s1
	v_dual_mov_b32 v7, 0 :: v_dual_mov_b32 v8, 0
	s_mov_b32 s1, exec_lo
	v_cmpx_gt_i32_e64 s8, v1
	s_cbranch_execz .LBB9_17
; %bb.16:
	v_add_nc_u32_e32 v2, s2, v1
	v_add_nc_u32_e32 v1, 0x100, v1
	global_load_b32 v8, v2, s[6:7] scale_offset
.LBB9_17:
	s_wait_xcnt 0x0
	s_or_b32 exec_lo, exec_lo, s1
	s_delay_alu instid0(SALU_CYCLE_1)
	s_mov_b32 s1, exec_lo
	v_cmpx_gt_i32_e64 s8, v1
	s_cbranch_execz .LBB9_19
; %bb.18:
	v_add_nc_u32_e32 v1, s2, v1
	global_load_b32 v7, v1, s[6:7] scale_offset
.LBB9_19:
	s_wait_xcnt 0x0
	s_or_b32 exec_lo, exec_lo, s1
	v_mov_b32_e32 v2, 0
	s_delay_alu instid0(VALU_DEP_1)
	v_dual_mov_b32 v1, v2 :: v_dual_mov_b32 v4, v2
	v_mov_b32_e32 v3, v2
	s_and_saveexec_b32 s1, s0
	s_cbranch_execz .LBB9_23
; %bb.20:
	v_mov_b32_e32 v2, 1.0
	s_mov_b32 s3, exec_lo
	s_wait_loadcnt 0x0
	v_cmpx_lt_f32_e32 s9, v10
	s_cbranch_execz .LBB9_22
; %bb.21:
	v_add_f32_e32 v1, 0x33d6bf95, v10
	s_delay_alu instid0(VALU_DEP_1) | instskip(NEXT) | instid1(VALU_DEP_1)
	v_div_scale_f32 v2, null, v1, v1, s9
	v_rcp_f32_e32 v3, v2
	v_nop
	s_delay_alu instid0(TRANS32_DEP_1) | instskip(NEXT) | instid1(VALU_DEP_1)
	v_fma_f32 v4, -v2, v3, 1.0
	v_fmac_f32_e32 v3, v4, v3
	v_div_scale_f32 v4, vcc_lo, s9, v1, s9
	s_delay_alu instid0(VALU_DEP_1) | instskip(NEXT) | instid1(VALU_DEP_1)
	v_mul_f32_e32 v10, v4, v3
	v_fma_f32 v11, -v2, v10, v4
	s_delay_alu instid0(VALU_DEP_1) | instskip(NEXT) | instid1(VALU_DEP_1)
	v_fmac_f32_e32 v10, v11, v3
	v_fma_f32 v2, -v2, v10, v4
	s_delay_alu instid0(VALU_DEP_1) | instskip(NEXT) | instid1(VALU_DEP_1)
	v_div_fmas_f32 v2, v2, v3, v10
	v_div_fixup_f32 v2, v2, v1, s9
.LBB9_22:
	s_or_b32 exec_lo, exec_lo, s3
	v_mov_b32_e32 v1, 0
	s_delay_alu instid0(VALU_DEP_1)
	v_dual_mov_b32 v4, v1 :: v_dual_mov_b32 v3, v1
.LBB9_23:
	s_or_b32 exec_lo, exec_lo, s1
	s_delay_alu instid0(SALU_CYCLE_1)
	s_mov_b32 s1, exec_lo
	v_cmpx_gt_i32_e64 s8, v6
	s_cbranch_execz .LBB9_27
; %bb.24:
	v_mov_b32_e32 v1, 1.0
	s_mov_b32 s3, exec_lo
	s_wait_loadcnt 0x0
	v_cmpx_lt_f32_e32 s9, v9
	s_cbranch_execz .LBB9_26
; %bb.25:
	v_add_f32_e32 v1, 0x33d6bf95, v9
	s_delay_alu instid0(VALU_DEP_1) | instskip(NEXT) | instid1(VALU_DEP_1)
	v_div_scale_f32 v9, null, v1, v1, s9
	v_rcp_f32_e32 v10, v9
	v_nop
	s_delay_alu instid0(TRANS32_DEP_1) | instskip(NEXT) | instid1(VALU_DEP_1)
	v_fma_f32 v11, -v9, v10, 1.0
	v_fmac_f32_e32 v10, v11, v10
	v_div_scale_f32 v11, vcc_lo, s9, v1, s9
	s_delay_alu instid0(VALU_DEP_1) | instskip(NEXT) | instid1(VALU_DEP_1)
	v_mul_f32_e32 v12, v11, v10
	v_fma_f32 v13, -v9, v12, v11
	s_delay_alu instid0(VALU_DEP_1) | instskip(NEXT) | instid1(VALU_DEP_1)
	v_fmac_f32_e32 v12, v13, v10
	v_fma_f32 v9, -v9, v12, v11
	s_delay_alu instid0(VALU_DEP_1) | instskip(NEXT) | instid1(VALU_DEP_1)
	v_div_fmas_f32 v9, v9, v10, v12
	v_div_fixup_f32 v1, v9, v1, s9
.LBB9_26:
	s_or_b32 exec_lo, exec_lo, s3
.LBB9_27:
	s_delay_alu instid0(SALU_CYCLE_1) | instskip(SKIP_3) | instid1(VALU_DEP_1)
	s_or_b32 exec_lo, exec_lo, s1
	s_wait_loadcnt 0x0
	v_or_b32_e32 v9, 0x200, v0
	s_mov_b32 s1, exec_lo
	v_cmpx_gt_i32_e64 s8, v9
	s_cbranch_execz .LBB9_31
; %bb.28:
	v_mov_b32_e32 v4, 1.0
	s_mov_b32 s3, exec_lo
	v_cmpx_lt_f32_e32 s9, v8
	s_cbranch_execz .LBB9_30
; %bb.29:
	v_add_f32_e32 v4, 0x33d6bf95, v8
	s_delay_alu instid0(VALU_DEP_1) | instskip(NEXT) | instid1(VALU_DEP_1)
	v_div_scale_f32 v8, null, v4, v4, s9
	v_rcp_f32_e32 v9, v8
	v_nop
	s_delay_alu instid0(TRANS32_DEP_1) | instskip(NEXT) | instid1(VALU_DEP_1)
	v_fma_f32 v10, -v8, v9, 1.0
	v_fmac_f32_e32 v9, v10, v9
	v_div_scale_f32 v10, vcc_lo, s9, v4, s9
	s_delay_alu instid0(VALU_DEP_1) | instskip(NEXT) | instid1(VALU_DEP_1)
	v_mul_f32_e32 v11, v10, v9
	v_fma_f32 v12, -v8, v11, v10
	s_delay_alu instid0(VALU_DEP_1) | instskip(NEXT) | instid1(VALU_DEP_1)
	v_fmac_f32_e32 v11, v12, v9
	v_fma_f32 v8, -v8, v11, v10
	s_delay_alu instid0(VALU_DEP_1) | instskip(NEXT) | instid1(VALU_DEP_1)
	v_div_fmas_f32 v8, v8, v9, v11
	v_div_fixup_f32 v4, v8, v4, s9
.LBB9_30:
	s_or_b32 exec_lo, exec_lo, s3
.LBB9_31:
	s_delay_alu instid0(SALU_CYCLE_1) | instskip(SKIP_2) | instid1(VALU_DEP_1)
	s_or_b32 exec_lo, exec_lo, s1
	v_or_b32_e32 v8, 0x300, v0
	s_mov_b32 s1, exec_lo
	v_cmpx_gt_i32_e64 s8, v8
	s_cbranch_execnz .LBB9_38
; %bb.32:
	s_or_b32 exec_lo, exec_lo, s1
	s_and_saveexec_b32 s1, s0
	s_delay_alu instid0(SALU_CYCLE_1)
	s_xor_b32 s0, exec_lo, s1
	s_cbranch_execnz .LBB9_41
.LBB9_33:
	s_or_b32 exec_lo, exec_lo, s0
	s_delay_alu instid0(SALU_CYCLE_1)
	s_mov_b32 s0, exec_lo
	v_cmpx_gt_i32_e64 s8, v0
	s_cbranch_execnz .LBB9_42
.LBB9_34:
	s_or_b32 exec_lo, exec_lo, s0
	s_delay_alu instid0(SALU_CYCLE_1)
	s_mov_b32 s0, exec_lo
	v_cmpx_gt_i32_e64 s8, v0
	s_cbranch_execnz .LBB9_43
.LBB9_35:
	s_or_b32 exec_lo, exec_lo, s0
	s_delay_alu instid0(SALU_CYCLE_1)
	s_mov_b32 s0, exec_lo
	v_cmpx_gt_i32_e64 s8, v0
	s_cbranch_execz .LBB9_37
.LBB9_36:
	v_add_nc_u32_e32 v0, s2, v0
	global_store_b32 v0, v3, s[4:5] scale_offset
.LBB9_37:
	s_endpgm
.LBB9_38:
	v_mov_b32_e32 v3, 1.0
	s_mov_b32 s3, exec_lo
	v_cmpx_lt_f32_e32 s9, v7
	s_cbranch_execz .LBB9_40
; %bb.39:
	v_add_f32_e32 v3, 0x33d6bf95, v7
	s_delay_alu instid0(VALU_DEP_1) | instskip(NEXT) | instid1(VALU_DEP_1)
	v_div_scale_f32 v7, null, v3, v3, s9
	v_rcp_f32_e32 v8, v7
	v_nop
	s_delay_alu instid0(TRANS32_DEP_1) | instskip(NEXT) | instid1(VALU_DEP_1)
	v_fma_f32 v9, -v7, v8, 1.0
	v_fmac_f32_e32 v8, v9, v8
	v_div_scale_f32 v9, vcc_lo, s9, v3, s9
	s_delay_alu instid0(VALU_DEP_1) | instskip(NEXT) | instid1(VALU_DEP_1)
	v_mul_f32_e32 v10, v9, v8
	v_fma_f32 v11, -v7, v10, v9
	s_delay_alu instid0(VALU_DEP_1) | instskip(NEXT) | instid1(VALU_DEP_1)
	v_fmac_f32_e32 v10, v11, v8
	v_fma_f32 v7, -v7, v10, v9
	s_delay_alu instid0(VALU_DEP_1) | instskip(NEXT) | instid1(VALU_DEP_1)
	v_div_fmas_f32 v7, v7, v8, v10
	v_div_fixup_f32 v3, v7, v3, s9
.LBB9_40:
	s_or_b32 exec_lo, exec_lo, s3
	s_delay_alu instid0(SALU_CYCLE_1) | instskip(SKIP_1) | instid1(SALU_CYCLE_1)
	s_or_b32 exec_lo, exec_lo, s1
	s_and_saveexec_b32 s1, s0
	s_xor_b32 s0, exec_lo, s1
	s_cbranch_execz .LBB9_33
.LBB9_41:
	v_mov_b32_e32 v0, v6
	global_store_b32 v5, v2, s[4:5] scale_offset
	s_wait_xcnt 0x0
	s_or_b32 exec_lo, exec_lo, s0
	s_delay_alu instid0(SALU_CYCLE_1)
	s_mov_b32 s0, exec_lo
	v_cmpx_gt_i32_e64 s8, v0
	s_cbranch_execz .LBB9_34
.LBB9_42:
	v_add_nc_u32_e32 v2, s2, v0
	v_add_nc_u32_e32 v0, 0x100, v0
	global_store_b32 v2, v1, s[4:5] scale_offset
	s_wait_xcnt 0x0
	s_or_b32 exec_lo, exec_lo, s0
	s_delay_alu instid0(SALU_CYCLE_1)
	s_mov_b32 s0, exec_lo
	v_cmpx_gt_i32_e64 s8, v0
	s_cbranch_execz .LBB9_35
.LBB9_43:
	v_add_nc_u32_e32 v1, s2, v0
	v_add_nc_u32_e32 v0, 0x100, v0
	global_store_b32 v1, v4, s[4:5] scale_offset
	s_wait_xcnt 0x0
	s_or_b32 exec_lo, exec_lo, s0
	s_delay_alu instid0(SALU_CYCLE_1)
	s_mov_b32 s0, exec_lo
	v_cmpx_gt_i32_e64 s8, v0
	s_cbranch_execnz .LBB9_36
	s_branch .LBB9_37
	.section	.rodata,"a",@progbits
	.p2align	6, 0x0
	.amdhsa_kernel _ZN2at6native29vectorized_elementwise_kernelILi8EZZZNS0_12_GLOBAL__N_124renorm_scale_factor_implERNS_18TensorIteratorBaseEdENKUlvE_clEvENKUlvE0_clEvEUlfE_St5arrayIPcLm2EEEEviT0_T1_
		.amdhsa_group_segment_fixed_size 0
		.amdhsa_private_segment_fixed_size 0
		.amdhsa_kernarg_size 24
		.amdhsa_user_sgpr_count 2
		.amdhsa_user_sgpr_dispatch_ptr 0
		.amdhsa_user_sgpr_queue_ptr 0
		.amdhsa_user_sgpr_kernarg_segment_ptr 1
		.amdhsa_user_sgpr_dispatch_id 0
		.amdhsa_user_sgpr_kernarg_preload_length 0
		.amdhsa_user_sgpr_kernarg_preload_offset 0
		.amdhsa_user_sgpr_private_segment_size 0
		.amdhsa_wavefront_size32 1
		.amdhsa_uses_dynamic_stack 0
		.amdhsa_enable_private_segment 0
		.amdhsa_system_sgpr_workgroup_id_x 1
		.amdhsa_system_sgpr_workgroup_id_y 0
		.amdhsa_system_sgpr_workgroup_id_z 0
		.amdhsa_system_sgpr_workgroup_info 0
		.amdhsa_system_vgpr_workitem_id 0
		.amdhsa_next_free_vgpr 14
		.amdhsa_next_free_sgpr 12
		.amdhsa_named_barrier_count 0
		.amdhsa_reserve_vcc 1
		.amdhsa_float_round_mode_32 0
		.amdhsa_float_round_mode_16_64 0
		.amdhsa_float_denorm_mode_32 3
		.amdhsa_float_denorm_mode_16_64 3
		.amdhsa_fp16_overflow 0
		.amdhsa_memory_ordered 1
		.amdhsa_forward_progress 1
		.amdhsa_inst_pref_size 15
		.amdhsa_round_robin_scheduling 0
		.amdhsa_exception_fp_ieee_invalid_op 0
		.amdhsa_exception_fp_denorm_src 0
		.amdhsa_exception_fp_ieee_div_zero 0
		.amdhsa_exception_fp_ieee_overflow 0
		.amdhsa_exception_fp_ieee_underflow 0
		.amdhsa_exception_fp_ieee_inexact 0
		.amdhsa_exception_int_div_zero 0
	.end_amdhsa_kernel
	.section	.text._ZN2at6native29vectorized_elementwise_kernelILi8EZZZNS0_12_GLOBAL__N_124renorm_scale_factor_implERNS_18TensorIteratorBaseEdENKUlvE_clEvENKUlvE0_clEvEUlfE_St5arrayIPcLm2EEEEviT0_T1_,"axG",@progbits,_ZN2at6native29vectorized_elementwise_kernelILi8EZZZNS0_12_GLOBAL__N_124renorm_scale_factor_implERNS_18TensorIteratorBaseEdENKUlvE_clEvENKUlvE0_clEvEUlfE_St5arrayIPcLm2EEEEviT0_T1_,comdat
.Lfunc_end9:
	.size	_ZN2at6native29vectorized_elementwise_kernelILi8EZZZNS0_12_GLOBAL__N_124renorm_scale_factor_implERNS_18TensorIteratorBaseEdENKUlvE_clEvENKUlvE0_clEvEUlfE_St5arrayIPcLm2EEEEviT0_T1_, .Lfunc_end9-_ZN2at6native29vectorized_elementwise_kernelILi8EZZZNS0_12_GLOBAL__N_124renorm_scale_factor_implERNS_18TensorIteratorBaseEdENKUlvE_clEvENKUlvE0_clEvEUlfE_St5arrayIPcLm2EEEEviT0_T1_
                                        ; -- End function
	.set _ZN2at6native29vectorized_elementwise_kernelILi8EZZZNS0_12_GLOBAL__N_124renorm_scale_factor_implERNS_18TensorIteratorBaseEdENKUlvE_clEvENKUlvE0_clEvEUlfE_St5arrayIPcLm2EEEEviT0_T1_.num_vgpr, 14
	.set _ZN2at6native29vectorized_elementwise_kernelILi8EZZZNS0_12_GLOBAL__N_124renorm_scale_factor_implERNS_18TensorIteratorBaseEdENKUlvE_clEvENKUlvE0_clEvEUlfE_St5arrayIPcLm2EEEEviT0_T1_.num_agpr, 0
	.set _ZN2at6native29vectorized_elementwise_kernelILi8EZZZNS0_12_GLOBAL__N_124renorm_scale_factor_implERNS_18TensorIteratorBaseEdENKUlvE_clEvENKUlvE0_clEvEUlfE_St5arrayIPcLm2EEEEviT0_T1_.numbered_sgpr, 12
	.set _ZN2at6native29vectorized_elementwise_kernelILi8EZZZNS0_12_GLOBAL__N_124renorm_scale_factor_implERNS_18TensorIteratorBaseEdENKUlvE_clEvENKUlvE0_clEvEUlfE_St5arrayIPcLm2EEEEviT0_T1_.num_named_barrier, 0
	.set _ZN2at6native29vectorized_elementwise_kernelILi8EZZZNS0_12_GLOBAL__N_124renorm_scale_factor_implERNS_18TensorIteratorBaseEdENKUlvE_clEvENKUlvE0_clEvEUlfE_St5arrayIPcLm2EEEEviT0_T1_.private_seg_size, 0
	.set _ZN2at6native29vectorized_elementwise_kernelILi8EZZZNS0_12_GLOBAL__N_124renorm_scale_factor_implERNS_18TensorIteratorBaseEdENKUlvE_clEvENKUlvE0_clEvEUlfE_St5arrayIPcLm2EEEEviT0_T1_.uses_vcc, 1
	.set _ZN2at6native29vectorized_elementwise_kernelILi8EZZZNS0_12_GLOBAL__N_124renorm_scale_factor_implERNS_18TensorIteratorBaseEdENKUlvE_clEvENKUlvE0_clEvEUlfE_St5arrayIPcLm2EEEEviT0_T1_.uses_flat_scratch, 0
	.set _ZN2at6native29vectorized_elementwise_kernelILi8EZZZNS0_12_GLOBAL__N_124renorm_scale_factor_implERNS_18TensorIteratorBaseEdENKUlvE_clEvENKUlvE0_clEvEUlfE_St5arrayIPcLm2EEEEviT0_T1_.has_dyn_sized_stack, 0
	.set _ZN2at6native29vectorized_elementwise_kernelILi8EZZZNS0_12_GLOBAL__N_124renorm_scale_factor_implERNS_18TensorIteratorBaseEdENKUlvE_clEvENKUlvE0_clEvEUlfE_St5arrayIPcLm2EEEEviT0_T1_.has_recursion, 0
	.set _ZN2at6native29vectorized_elementwise_kernelILi8EZZZNS0_12_GLOBAL__N_124renorm_scale_factor_implERNS_18TensorIteratorBaseEdENKUlvE_clEvENKUlvE0_clEvEUlfE_St5arrayIPcLm2EEEEviT0_T1_.has_indirect_call, 0
	.section	.AMDGPU.csdata,"",@progbits
; Kernel info:
; codeLenInByte = 1808
; TotalNumSgprs: 14
; NumVgprs: 14
; ScratchSize: 0
; MemoryBound: 0
; FloatMode: 240
; IeeeMode: 1
; LDSByteSize: 0 bytes/workgroup (compile time only)
; SGPRBlocks: 0
; VGPRBlocks: 0
; NumSGPRsForWavesPerEU: 14
; NumVGPRsForWavesPerEU: 14
; NamedBarCnt: 0
; Occupancy: 16
; WaveLimiterHint : 0
; COMPUTE_PGM_RSRC2:SCRATCH_EN: 0
; COMPUTE_PGM_RSRC2:USER_SGPR: 2
; COMPUTE_PGM_RSRC2:TRAP_HANDLER: 0
; COMPUTE_PGM_RSRC2:TGID_X_EN: 1
; COMPUTE_PGM_RSRC2:TGID_Y_EN: 0
; COMPUTE_PGM_RSRC2:TGID_Z_EN: 0
; COMPUTE_PGM_RSRC2:TIDIG_COMP_CNT: 0
	.section	.text._ZN2at6native29vectorized_elementwise_kernelILi4EZZZNS0_12_GLOBAL__N_124renorm_scale_factor_implERNS_18TensorIteratorBaseEdENKUlvE_clEvENKUlvE0_clEvEUlfE_St5arrayIPcLm2EEEEviT0_T1_,"axG",@progbits,_ZN2at6native29vectorized_elementwise_kernelILi4EZZZNS0_12_GLOBAL__N_124renorm_scale_factor_implERNS_18TensorIteratorBaseEdENKUlvE_clEvENKUlvE0_clEvEUlfE_St5arrayIPcLm2EEEEviT0_T1_,comdat
	.globl	_ZN2at6native29vectorized_elementwise_kernelILi4EZZZNS0_12_GLOBAL__N_124renorm_scale_factor_implERNS_18TensorIteratorBaseEdENKUlvE_clEvENKUlvE0_clEvEUlfE_St5arrayIPcLm2EEEEviT0_T1_ ; -- Begin function _ZN2at6native29vectorized_elementwise_kernelILi4EZZZNS0_12_GLOBAL__N_124renorm_scale_factor_implERNS_18TensorIteratorBaseEdENKUlvE_clEvENKUlvE0_clEvEUlfE_St5arrayIPcLm2EEEEviT0_T1_
	.p2align	8
	.type	_ZN2at6native29vectorized_elementwise_kernelILi4EZZZNS0_12_GLOBAL__N_124renorm_scale_factor_implERNS_18TensorIteratorBaseEdENKUlvE_clEvENKUlvE0_clEvEUlfE_St5arrayIPcLm2EEEEviT0_T1_,@function
_ZN2at6native29vectorized_elementwise_kernelILi4EZZZNS0_12_GLOBAL__N_124renorm_scale_factor_implERNS_18TensorIteratorBaseEdENKUlvE_clEvENKUlvE0_clEvEUlfE_St5arrayIPcLm2EEEEviT0_T1_: ; @_ZN2at6native29vectorized_elementwise_kernelILi4EZZZNS0_12_GLOBAL__N_124renorm_scale_factor_implERNS_18TensorIteratorBaseEdENKUlvE_clEvENKUlvE0_clEvEUlfE_St5arrayIPcLm2EEEEviT0_T1_
; %bb.0:
	s_clause 0x1
	s_load_b64 s[8:9], s[0:1], 0x0
	s_load_b128 s[4:7], s[0:1], 0x8
	s_wait_xcnt 0x0
	s_bfe_u32 s0, ttmp6, 0x4000c
	s_and_b32 s1, ttmp6, 15
	s_add_co_i32 s0, s0, 1
	s_getreg_b32 s2, hwreg(HW_REG_IB_STS2, 6, 4)
	s_mul_i32 s0, ttmp9, s0
	s_delay_alu instid0(SALU_CYCLE_1) | instskip(SKIP_2) | instid1(SALU_CYCLE_1)
	s_add_co_i32 s1, s1, s0
	s_cmp_eq_u32 s2, 0
	s_cselect_b32 s0, ttmp9, s1
	s_lshl_b32 s2, s0, 10
	s_mov_b32 s0, -1
	s_wait_kmcnt 0x0
	s_sub_co_i32 s8, s8, s2
	s_delay_alu instid0(SALU_CYCLE_1)
	s_cmp_gt_i32 s8, 0x3ff
	s_cbranch_scc0 .LBB10_10
; %bb.1:
	s_ashr_i32 s3, s2, 31
	v_dual_mov_b32 v3, 1.0 :: v_dual_mov_b32 v2, 1.0
	s_lshl_b64 s[0:1], s[2:3], 2
	s_mov_b32 s3, exec_lo
	s_add_nc_u64 s[10:11], s[6:7], s[0:1]
	global_load_b128 v[4:7], v0, s[10:11] scale_offset
	s_wait_loadcnt 0x0
	v_cmpx_lt_f32_e32 s9, v4
	s_cbranch_execz .LBB10_3
; %bb.2:
	v_add_f32_e32 v1, 0x33d6bf95, v4
	s_delay_alu instid0(VALU_DEP_1) | instskip(NEXT) | instid1(VALU_DEP_1)
	v_div_scale_f32 v2, null, v1, v1, s9
	v_rcp_f32_e32 v4, v2
	v_nop
	s_delay_alu instid0(TRANS32_DEP_1) | instskip(NEXT) | instid1(VALU_DEP_1)
	v_fma_f32 v8, -v2, v4, 1.0
	v_fmac_f32_e32 v4, v8, v4
	v_div_scale_f32 v8, vcc_lo, s9, v1, s9
	s_delay_alu instid0(VALU_DEP_1) | instskip(NEXT) | instid1(VALU_DEP_1)
	v_mul_f32_e32 v9, v8, v4
	v_fma_f32 v10, -v2, v9, v8
	s_delay_alu instid0(VALU_DEP_1) | instskip(NEXT) | instid1(VALU_DEP_1)
	v_fmac_f32_e32 v9, v10, v4
	v_fma_f32 v2, -v2, v9, v8
	s_delay_alu instid0(VALU_DEP_1) | instskip(NEXT) | instid1(VALU_DEP_1)
	v_div_fmas_f32 v2, v2, v4, v9
	v_div_fixup_f32 v2, v2, v1, s9
.LBB10_3:
	s_or_b32 exec_lo, exec_lo, s3
	s_delay_alu instid0(SALU_CYCLE_1)
	s_mov_b32 s3, exec_lo
	v_cmpx_lt_f32_e32 s9, v5
	s_cbranch_execz .LBB10_5
; %bb.4:
	v_add_f32_e32 v1, 0x33d6bf95, v5
	s_delay_alu instid0(VALU_DEP_1) | instskip(NEXT) | instid1(VALU_DEP_1)
	v_div_scale_f32 v3, null, v1, v1, s9
	v_rcp_f32_e32 v4, v3
	v_nop
	s_delay_alu instid0(TRANS32_DEP_1) | instskip(NEXT) | instid1(VALU_DEP_1)
	v_fma_f32 v5, -v3, v4, 1.0
	v_fmac_f32_e32 v4, v5, v4
	v_div_scale_f32 v5, vcc_lo, s9, v1, s9
	s_delay_alu instid0(VALU_DEP_1) | instskip(NEXT) | instid1(VALU_DEP_1)
	v_mul_f32_e32 v8, v5, v4
	v_fma_f32 v9, -v3, v8, v5
	s_delay_alu instid0(VALU_DEP_1) | instskip(NEXT) | instid1(VALU_DEP_1)
	v_fmac_f32_e32 v8, v9, v4
	v_fma_f32 v3, -v3, v8, v5
	s_delay_alu instid0(VALU_DEP_1) | instskip(NEXT) | instid1(VALU_DEP_1)
	v_div_fmas_f32 v3, v3, v4, v8
	v_div_fixup_f32 v3, v3, v1, s9
.LBB10_5:
	s_or_b32 exec_lo, exec_lo, s3
	v_dual_mov_b32 v5, 1.0 :: v_dual_mov_b32 v4, 1.0
	s_mov_b32 s3, exec_lo
	v_cmpx_lt_f32_e32 s9, v6
	s_cbranch_execz .LBB10_7
; %bb.6:
	v_add_f32_e32 v1, 0x33d6bf95, v6
	s_delay_alu instid0(VALU_DEP_1) | instskip(NEXT) | instid1(VALU_DEP_1)
	v_div_scale_f32 v4, null, v1, v1, s9
	v_rcp_f32_e32 v6, v4
	v_nop
	s_delay_alu instid0(TRANS32_DEP_1) | instskip(NEXT) | instid1(VALU_DEP_1)
	v_fma_f32 v8, -v4, v6, 1.0
	v_fmac_f32_e32 v6, v8, v6
	v_div_scale_f32 v8, vcc_lo, s9, v1, s9
	s_delay_alu instid0(VALU_DEP_1) | instskip(NEXT) | instid1(VALU_DEP_1)
	v_mul_f32_e32 v9, v8, v6
	v_fma_f32 v10, -v4, v9, v8
	s_delay_alu instid0(VALU_DEP_1) | instskip(NEXT) | instid1(VALU_DEP_1)
	v_fmac_f32_e32 v9, v10, v6
	v_fma_f32 v4, -v4, v9, v8
	s_delay_alu instid0(VALU_DEP_1) | instskip(NEXT) | instid1(VALU_DEP_1)
	v_div_fmas_f32 v4, v4, v6, v9
	v_div_fixup_f32 v4, v4, v1, s9
.LBB10_7:
	s_or_b32 exec_lo, exec_lo, s3
	s_delay_alu instid0(SALU_CYCLE_1)
	s_mov_b32 s3, exec_lo
	v_cmpx_lt_f32_e32 s9, v7
	s_cbranch_execz .LBB10_9
; %bb.8:
	v_add_f32_e32 v1, 0x33d6bf95, v7
	s_delay_alu instid0(VALU_DEP_1) | instskip(NEXT) | instid1(VALU_DEP_1)
	v_div_scale_f32 v5, null, v1, v1, s9
	v_rcp_f32_e32 v6, v5
	v_nop
	s_delay_alu instid0(TRANS32_DEP_1) | instskip(NEXT) | instid1(VALU_DEP_1)
	v_fma_f32 v7, -v5, v6, 1.0
	v_fmac_f32_e32 v6, v7, v6
	v_div_scale_f32 v7, vcc_lo, s9, v1, s9
	s_delay_alu instid0(VALU_DEP_1) | instskip(NEXT) | instid1(VALU_DEP_1)
	v_mul_f32_e32 v8, v7, v6
	v_fma_f32 v9, -v5, v8, v7
	s_delay_alu instid0(VALU_DEP_1) | instskip(NEXT) | instid1(VALU_DEP_1)
	v_fmac_f32_e32 v8, v9, v6
	v_fma_f32 v5, -v5, v8, v7
	s_delay_alu instid0(VALU_DEP_1) | instskip(NEXT) | instid1(VALU_DEP_1)
	v_div_fmas_f32 v5, v5, v6, v8
	v_div_fixup_f32 v5, v5, v1, s9
.LBB10_9:
	s_or_b32 exec_lo, exec_lo, s3
	s_add_nc_u64 s[10:11], s[4:5], s[0:1]
	s_mov_b32 s0, 0
	global_store_b128 v0, v[2:5], s[10:11] scale_offset
.LBB10_10:
	s_and_b32 vcc_lo, exec_lo, s0
	s_cbranch_vccz .LBB10_37
; %bb.11:
	v_cmp_gt_i32_e64 s0, s8, v0
	s_wait_xcnt 0x0
	v_dual_mov_b32 v9, 0 :: v_dual_bitop2_b32 v5, s2, v0 bitop3:0x54
	v_or_b32_e32 v6, 0x100, v0
	v_dual_mov_b32 v10, 0 :: v_dual_mov_b32 v1, v0
	s_and_saveexec_b32 s1, s0
	s_cbranch_execz .LBB10_13
; %bb.12:
	global_load_b32 v10, v5, s[6:7] scale_offset
	v_or_b32_e32 v1, 0x100, v0
.LBB10_13:
	s_wait_xcnt 0x0
	s_or_b32 exec_lo, exec_lo, s1
	s_delay_alu instid0(SALU_CYCLE_1) | instskip(NEXT) | instid1(VALU_DEP_1)
	s_mov_b32 s1, exec_lo
	v_cmpx_gt_i32_e64 s8, v1
	s_cbranch_execz .LBB10_15
; %bb.14:
	v_add_nc_u32_e32 v2, s2, v1
	v_add_nc_u32_e32 v1, 0x100, v1
	global_load_b32 v9, v2, s[6:7] scale_offset
.LBB10_15:
	s_wait_xcnt 0x0
	s_or_b32 exec_lo, exec_lo, s1
	v_dual_mov_b32 v7, 0 :: v_dual_mov_b32 v8, 0
	s_mov_b32 s1, exec_lo
	v_cmpx_gt_i32_e64 s8, v1
	s_cbranch_execz .LBB10_17
; %bb.16:
	v_add_nc_u32_e32 v2, s2, v1
	v_add_nc_u32_e32 v1, 0x100, v1
	global_load_b32 v8, v2, s[6:7] scale_offset
.LBB10_17:
	s_wait_xcnt 0x0
	s_or_b32 exec_lo, exec_lo, s1
	s_delay_alu instid0(SALU_CYCLE_1)
	s_mov_b32 s1, exec_lo
	v_cmpx_gt_i32_e64 s8, v1
	s_cbranch_execz .LBB10_19
; %bb.18:
	v_add_nc_u32_e32 v1, s2, v1
	global_load_b32 v7, v1, s[6:7] scale_offset
.LBB10_19:
	s_wait_xcnt 0x0
	s_or_b32 exec_lo, exec_lo, s1
	v_mov_b32_e32 v2, 0
	s_delay_alu instid0(VALU_DEP_1)
	v_dual_mov_b32 v1, v2 :: v_dual_mov_b32 v4, v2
	v_mov_b32_e32 v3, v2
	s_and_saveexec_b32 s1, s0
	s_cbranch_execz .LBB10_23
; %bb.20:
	v_mov_b32_e32 v2, 1.0
	s_mov_b32 s3, exec_lo
	s_wait_loadcnt 0x0
	v_cmpx_lt_f32_e32 s9, v10
	s_cbranch_execz .LBB10_22
; %bb.21:
	v_add_f32_e32 v1, 0x33d6bf95, v10
	s_delay_alu instid0(VALU_DEP_1) | instskip(NEXT) | instid1(VALU_DEP_1)
	v_div_scale_f32 v2, null, v1, v1, s9
	v_rcp_f32_e32 v3, v2
	v_nop
	s_delay_alu instid0(TRANS32_DEP_1) | instskip(NEXT) | instid1(VALU_DEP_1)
	v_fma_f32 v4, -v2, v3, 1.0
	v_fmac_f32_e32 v3, v4, v3
	v_div_scale_f32 v4, vcc_lo, s9, v1, s9
	s_delay_alu instid0(VALU_DEP_1) | instskip(NEXT) | instid1(VALU_DEP_1)
	v_mul_f32_e32 v10, v4, v3
	v_fma_f32 v11, -v2, v10, v4
	s_delay_alu instid0(VALU_DEP_1) | instskip(NEXT) | instid1(VALU_DEP_1)
	v_fmac_f32_e32 v10, v11, v3
	v_fma_f32 v2, -v2, v10, v4
	s_delay_alu instid0(VALU_DEP_1) | instskip(NEXT) | instid1(VALU_DEP_1)
	v_div_fmas_f32 v2, v2, v3, v10
	v_div_fixup_f32 v2, v2, v1, s9
.LBB10_22:
	s_or_b32 exec_lo, exec_lo, s3
	v_mov_b32_e32 v1, 0
	s_delay_alu instid0(VALU_DEP_1)
	v_dual_mov_b32 v4, v1 :: v_dual_mov_b32 v3, v1
.LBB10_23:
	s_or_b32 exec_lo, exec_lo, s1
	s_delay_alu instid0(SALU_CYCLE_1)
	s_mov_b32 s1, exec_lo
	v_cmpx_gt_i32_e64 s8, v6
	s_cbranch_execz .LBB10_27
; %bb.24:
	v_mov_b32_e32 v1, 1.0
	s_mov_b32 s3, exec_lo
	s_wait_loadcnt 0x0
	v_cmpx_lt_f32_e32 s9, v9
	s_cbranch_execz .LBB10_26
; %bb.25:
	v_add_f32_e32 v1, 0x33d6bf95, v9
	s_delay_alu instid0(VALU_DEP_1) | instskip(NEXT) | instid1(VALU_DEP_1)
	v_div_scale_f32 v9, null, v1, v1, s9
	v_rcp_f32_e32 v10, v9
	v_nop
	s_delay_alu instid0(TRANS32_DEP_1) | instskip(NEXT) | instid1(VALU_DEP_1)
	v_fma_f32 v11, -v9, v10, 1.0
	v_fmac_f32_e32 v10, v11, v10
	v_div_scale_f32 v11, vcc_lo, s9, v1, s9
	s_delay_alu instid0(VALU_DEP_1) | instskip(NEXT) | instid1(VALU_DEP_1)
	v_mul_f32_e32 v12, v11, v10
	v_fma_f32 v13, -v9, v12, v11
	s_delay_alu instid0(VALU_DEP_1) | instskip(NEXT) | instid1(VALU_DEP_1)
	v_fmac_f32_e32 v12, v13, v10
	v_fma_f32 v9, -v9, v12, v11
	s_delay_alu instid0(VALU_DEP_1) | instskip(NEXT) | instid1(VALU_DEP_1)
	v_div_fmas_f32 v9, v9, v10, v12
	v_div_fixup_f32 v1, v9, v1, s9
.LBB10_26:
	s_or_b32 exec_lo, exec_lo, s3
.LBB10_27:
	s_delay_alu instid0(SALU_CYCLE_1) | instskip(SKIP_3) | instid1(VALU_DEP_1)
	s_or_b32 exec_lo, exec_lo, s1
	s_wait_loadcnt 0x0
	v_or_b32_e32 v9, 0x200, v0
	s_mov_b32 s1, exec_lo
	v_cmpx_gt_i32_e64 s8, v9
	s_cbranch_execz .LBB10_31
; %bb.28:
	v_mov_b32_e32 v4, 1.0
	s_mov_b32 s3, exec_lo
	v_cmpx_lt_f32_e32 s9, v8
	s_cbranch_execz .LBB10_30
; %bb.29:
	v_add_f32_e32 v4, 0x33d6bf95, v8
	s_delay_alu instid0(VALU_DEP_1) | instskip(NEXT) | instid1(VALU_DEP_1)
	v_div_scale_f32 v8, null, v4, v4, s9
	v_rcp_f32_e32 v9, v8
	v_nop
	s_delay_alu instid0(TRANS32_DEP_1) | instskip(NEXT) | instid1(VALU_DEP_1)
	v_fma_f32 v10, -v8, v9, 1.0
	v_fmac_f32_e32 v9, v10, v9
	v_div_scale_f32 v10, vcc_lo, s9, v4, s9
	s_delay_alu instid0(VALU_DEP_1) | instskip(NEXT) | instid1(VALU_DEP_1)
	v_mul_f32_e32 v11, v10, v9
	v_fma_f32 v12, -v8, v11, v10
	s_delay_alu instid0(VALU_DEP_1) | instskip(NEXT) | instid1(VALU_DEP_1)
	v_fmac_f32_e32 v11, v12, v9
	v_fma_f32 v8, -v8, v11, v10
	s_delay_alu instid0(VALU_DEP_1) | instskip(NEXT) | instid1(VALU_DEP_1)
	v_div_fmas_f32 v8, v8, v9, v11
	v_div_fixup_f32 v4, v8, v4, s9
.LBB10_30:
	s_or_b32 exec_lo, exec_lo, s3
.LBB10_31:
	s_delay_alu instid0(SALU_CYCLE_1) | instskip(SKIP_2) | instid1(VALU_DEP_1)
	s_or_b32 exec_lo, exec_lo, s1
	v_or_b32_e32 v8, 0x300, v0
	s_mov_b32 s1, exec_lo
	v_cmpx_gt_i32_e64 s8, v8
	s_cbranch_execnz .LBB10_38
; %bb.32:
	s_or_b32 exec_lo, exec_lo, s1
	s_and_saveexec_b32 s1, s0
	s_delay_alu instid0(SALU_CYCLE_1)
	s_xor_b32 s0, exec_lo, s1
	s_cbranch_execnz .LBB10_41
.LBB10_33:
	s_or_b32 exec_lo, exec_lo, s0
	s_delay_alu instid0(SALU_CYCLE_1)
	s_mov_b32 s0, exec_lo
	v_cmpx_gt_i32_e64 s8, v0
	s_cbranch_execnz .LBB10_42
.LBB10_34:
	s_or_b32 exec_lo, exec_lo, s0
	s_delay_alu instid0(SALU_CYCLE_1)
	s_mov_b32 s0, exec_lo
	v_cmpx_gt_i32_e64 s8, v0
	s_cbranch_execnz .LBB10_43
.LBB10_35:
	s_or_b32 exec_lo, exec_lo, s0
	s_delay_alu instid0(SALU_CYCLE_1)
	s_mov_b32 s0, exec_lo
	v_cmpx_gt_i32_e64 s8, v0
	s_cbranch_execz .LBB10_37
.LBB10_36:
	v_add_nc_u32_e32 v0, s2, v0
	global_store_b32 v0, v3, s[4:5] scale_offset
.LBB10_37:
	s_endpgm
.LBB10_38:
	v_mov_b32_e32 v3, 1.0
	s_mov_b32 s3, exec_lo
	v_cmpx_lt_f32_e32 s9, v7
	s_cbranch_execz .LBB10_40
; %bb.39:
	v_add_f32_e32 v3, 0x33d6bf95, v7
	s_delay_alu instid0(VALU_DEP_1) | instskip(NEXT) | instid1(VALU_DEP_1)
	v_div_scale_f32 v7, null, v3, v3, s9
	v_rcp_f32_e32 v8, v7
	v_nop
	s_delay_alu instid0(TRANS32_DEP_1) | instskip(NEXT) | instid1(VALU_DEP_1)
	v_fma_f32 v9, -v7, v8, 1.0
	v_fmac_f32_e32 v8, v9, v8
	v_div_scale_f32 v9, vcc_lo, s9, v3, s9
	s_delay_alu instid0(VALU_DEP_1) | instskip(NEXT) | instid1(VALU_DEP_1)
	v_mul_f32_e32 v10, v9, v8
	v_fma_f32 v11, -v7, v10, v9
	s_delay_alu instid0(VALU_DEP_1) | instskip(NEXT) | instid1(VALU_DEP_1)
	v_fmac_f32_e32 v10, v11, v8
	v_fma_f32 v7, -v7, v10, v9
	s_delay_alu instid0(VALU_DEP_1) | instskip(NEXT) | instid1(VALU_DEP_1)
	v_div_fmas_f32 v7, v7, v8, v10
	v_div_fixup_f32 v3, v7, v3, s9
.LBB10_40:
	s_or_b32 exec_lo, exec_lo, s3
	s_delay_alu instid0(SALU_CYCLE_1) | instskip(SKIP_1) | instid1(SALU_CYCLE_1)
	s_or_b32 exec_lo, exec_lo, s1
	s_and_saveexec_b32 s1, s0
	s_xor_b32 s0, exec_lo, s1
	s_cbranch_execz .LBB10_33
.LBB10_41:
	v_mov_b32_e32 v0, v6
	global_store_b32 v5, v2, s[4:5] scale_offset
	s_wait_xcnt 0x0
	s_or_b32 exec_lo, exec_lo, s0
	s_delay_alu instid0(SALU_CYCLE_1)
	s_mov_b32 s0, exec_lo
	v_cmpx_gt_i32_e64 s8, v0
	s_cbranch_execz .LBB10_34
.LBB10_42:
	v_add_nc_u32_e32 v2, s2, v0
	v_add_nc_u32_e32 v0, 0x100, v0
	global_store_b32 v2, v1, s[4:5] scale_offset
	s_wait_xcnt 0x0
	s_or_b32 exec_lo, exec_lo, s0
	s_delay_alu instid0(SALU_CYCLE_1)
	s_mov_b32 s0, exec_lo
	v_cmpx_gt_i32_e64 s8, v0
	s_cbranch_execz .LBB10_35
.LBB10_43:
	v_add_nc_u32_e32 v1, s2, v0
	v_add_nc_u32_e32 v0, 0x100, v0
	global_store_b32 v1, v4, s[4:5] scale_offset
	s_wait_xcnt 0x0
	s_or_b32 exec_lo, exec_lo, s0
	s_delay_alu instid0(SALU_CYCLE_1)
	s_mov_b32 s0, exec_lo
	v_cmpx_gt_i32_e64 s8, v0
	s_cbranch_execnz .LBB10_36
	s_branch .LBB10_37
	.section	.rodata,"a",@progbits
	.p2align	6, 0x0
	.amdhsa_kernel _ZN2at6native29vectorized_elementwise_kernelILi4EZZZNS0_12_GLOBAL__N_124renorm_scale_factor_implERNS_18TensorIteratorBaseEdENKUlvE_clEvENKUlvE0_clEvEUlfE_St5arrayIPcLm2EEEEviT0_T1_
		.amdhsa_group_segment_fixed_size 0
		.amdhsa_private_segment_fixed_size 0
		.amdhsa_kernarg_size 24
		.amdhsa_user_sgpr_count 2
		.amdhsa_user_sgpr_dispatch_ptr 0
		.amdhsa_user_sgpr_queue_ptr 0
		.amdhsa_user_sgpr_kernarg_segment_ptr 1
		.amdhsa_user_sgpr_dispatch_id 0
		.amdhsa_user_sgpr_kernarg_preload_length 0
		.amdhsa_user_sgpr_kernarg_preload_offset 0
		.amdhsa_user_sgpr_private_segment_size 0
		.amdhsa_wavefront_size32 1
		.amdhsa_uses_dynamic_stack 0
		.amdhsa_enable_private_segment 0
		.amdhsa_system_sgpr_workgroup_id_x 1
		.amdhsa_system_sgpr_workgroup_id_y 0
		.amdhsa_system_sgpr_workgroup_id_z 0
		.amdhsa_system_sgpr_workgroup_info 0
		.amdhsa_system_vgpr_workitem_id 0
		.amdhsa_next_free_vgpr 14
		.amdhsa_next_free_sgpr 12
		.amdhsa_named_barrier_count 0
		.amdhsa_reserve_vcc 1
		.amdhsa_float_round_mode_32 0
		.amdhsa_float_round_mode_16_64 0
		.amdhsa_float_denorm_mode_32 3
		.amdhsa_float_denorm_mode_16_64 3
		.amdhsa_fp16_overflow 0
		.amdhsa_memory_ordered 1
		.amdhsa_forward_progress 1
		.amdhsa_inst_pref_size 15
		.amdhsa_round_robin_scheduling 0
		.amdhsa_exception_fp_ieee_invalid_op 0
		.amdhsa_exception_fp_denorm_src 0
		.amdhsa_exception_fp_ieee_div_zero 0
		.amdhsa_exception_fp_ieee_overflow 0
		.amdhsa_exception_fp_ieee_underflow 0
		.amdhsa_exception_fp_ieee_inexact 0
		.amdhsa_exception_int_div_zero 0
	.end_amdhsa_kernel
	.section	.text._ZN2at6native29vectorized_elementwise_kernelILi4EZZZNS0_12_GLOBAL__N_124renorm_scale_factor_implERNS_18TensorIteratorBaseEdENKUlvE_clEvENKUlvE0_clEvEUlfE_St5arrayIPcLm2EEEEviT0_T1_,"axG",@progbits,_ZN2at6native29vectorized_elementwise_kernelILi4EZZZNS0_12_GLOBAL__N_124renorm_scale_factor_implERNS_18TensorIteratorBaseEdENKUlvE_clEvENKUlvE0_clEvEUlfE_St5arrayIPcLm2EEEEviT0_T1_,comdat
.Lfunc_end10:
	.size	_ZN2at6native29vectorized_elementwise_kernelILi4EZZZNS0_12_GLOBAL__N_124renorm_scale_factor_implERNS_18TensorIteratorBaseEdENKUlvE_clEvENKUlvE0_clEvEUlfE_St5arrayIPcLm2EEEEviT0_T1_, .Lfunc_end10-_ZN2at6native29vectorized_elementwise_kernelILi4EZZZNS0_12_GLOBAL__N_124renorm_scale_factor_implERNS_18TensorIteratorBaseEdENKUlvE_clEvENKUlvE0_clEvEUlfE_St5arrayIPcLm2EEEEviT0_T1_
                                        ; -- End function
	.set _ZN2at6native29vectorized_elementwise_kernelILi4EZZZNS0_12_GLOBAL__N_124renorm_scale_factor_implERNS_18TensorIteratorBaseEdENKUlvE_clEvENKUlvE0_clEvEUlfE_St5arrayIPcLm2EEEEviT0_T1_.num_vgpr, 14
	.set _ZN2at6native29vectorized_elementwise_kernelILi4EZZZNS0_12_GLOBAL__N_124renorm_scale_factor_implERNS_18TensorIteratorBaseEdENKUlvE_clEvENKUlvE0_clEvEUlfE_St5arrayIPcLm2EEEEviT0_T1_.num_agpr, 0
	.set _ZN2at6native29vectorized_elementwise_kernelILi4EZZZNS0_12_GLOBAL__N_124renorm_scale_factor_implERNS_18TensorIteratorBaseEdENKUlvE_clEvENKUlvE0_clEvEUlfE_St5arrayIPcLm2EEEEviT0_T1_.numbered_sgpr, 12
	.set _ZN2at6native29vectorized_elementwise_kernelILi4EZZZNS0_12_GLOBAL__N_124renorm_scale_factor_implERNS_18TensorIteratorBaseEdENKUlvE_clEvENKUlvE0_clEvEUlfE_St5arrayIPcLm2EEEEviT0_T1_.num_named_barrier, 0
	.set _ZN2at6native29vectorized_elementwise_kernelILi4EZZZNS0_12_GLOBAL__N_124renorm_scale_factor_implERNS_18TensorIteratorBaseEdENKUlvE_clEvENKUlvE0_clEvEUlfE_St5arrayIPcLm2EEEEviT0_T1_.private_seg_size, 0
	.set _ZN2at6native29vectorized_elementwise_kernelILi4EZZZNS0_12_GLOBAL__N_124renorm_scale_factor_implERNS_18TensorIteratorBaseEdENKUlvE_clEvENKUlvE0_clEvEUlfE_St5arrayIPcLm2EEEEviT0_T1_.uses_vcc, 1
	.set _ZN2at6native29vectorized_elementwise_kernelILi4EZZZNS0_12_GLOBAL__N_124renorm_scale_factor_implERNS_18TensorIteratorBaseEdENKUlvE_clEvENKUlvE0_clEvEUlfE_St5arrayIPcLm2EEEEviT0_T1_.uses_flat_scratch, 0
	.set _ZN2at6native29vectorized_elementwise_kernelILi4EZZZNS0_12_GLOBAL__N_124renorm_scale_factor_implERNS_18TensorIteratorBaseEdENKUlvE_clEvENKUlvE0_clEvEUlfE_St5arrayIPcLm2EEEEviT0_T1_.has_dyn_sized_stack, 0
	.set _ZN2at6native29vectorized_elementwise_kernelILi4EZZZNS0_12_GLOBAL__N_124renorm_scale_factor_implERNS_18TensorIteratorBaseEdENKUlvE_clEvENKUlvE0_clEvEUlfE_St5arrayIPcLm2EEEEviT0_T1_.has_recursion, 0
	.set _ZN2at6native29vectorized_elementwise_kernelILi4EZZZNS0_12_GLOBAL__N_124renorm_scale_factor_implERNS_18TensorIteratorBaseEdENKUlvE_clEvENKUlvE0_clEvEUlfE_St5arrayIPcLm2EEEEviT0_T1_.has_indirect_call, 0
	.section	.AMDGPU.csdata,"",@progbits
; Kernel info:
; codeLenInByte = 1808
; TotalNumSgprs: 14
; NumVgprs: 14
; ScratchSize: 0
; MemoryBound: 0
; FloatMode: 240
; IeeeMode: 1
; LDSByteSize: 0 bytes/workgroup (compile time only)
; SGPRBlocks: 0
; VGPRBlocks: 0
; NumSGPRsForWavesPerEU: 14
; NumVGPRsForWavesPerEU: 14
; NamedBarCnt: 0
; Occupancy: 16
; WaveLimiterHint : 0
; COMPUTE_PGM_RSRC2:SCRATCH_EN: 0
; COMPUTE_PGM_RSRC2:USER_SGPR: 2
; COMPUTE_PGM_RSRC2:TRAP_HANDLER: 0
; COMPUTE_PGM_RSRC2:TGID_X_EN: 1
; COMPUTE_PGM_RSRC2:TGID_Y_EN: 0
; COMPUTE_PGM_RSRC2:TGID_Z_EN: 0
; COMPUTE_PGM_RSRC2:TIDIG_COMP_CNT: 0
	.section	.text._ZN2at6native29vectorized_elementwise_kernelILi2EZZZNS0_12_GLOBAL__N_124renorm_scale_factor_implERNS_18TensorIteratorBaseEdENKUlvE_clEvENKUlvE0_clEvEUlfE_St5arrayIPcLm2EEEEviT0_T1_,"axG",@progbits,_ZN2at6native29vectorized_elementwise_kernelILi2EZZZNS0_12_GLOBAL__N_124renorm_scale_factor_implERNS_18TensorIteratorBaseEdENKUlvE_clEvENKUlvE0_clEvEUlfE_St5arrayIPcLm2EEEEviT0_T1_,comdat
	.globl	_ZN2at6native29vectorized_elementwise_kernelILi2EZZZNS0_12_GLOBAL__N_124renorm_scale_factor_implERNS_18TensorIteratorBaseEdENKUlvE_clEvENKUlvE0_clEvEUlfE_St5arrayIPcLm2EEEEviT0_T1_ ; -- Begin function _ZN2at6native29vectorized_elementwise_kernelILi2EZZZNS0_12_GLOBAL__N_124renorm_scale_factor_implERNS_18TensorIteratorBaseEdENKUlvE_clEvENKUlvE0_clEvEUlfE_St5arrayIPcLm2EEEEviT0_T1_
	.p2align	8
	.type	_ZN2at6native29vectorized_elementwise_kernelILi2EZZZNS0_12_GLOBAL__N_124renorm_scale_factor_implERNS_18TensorIteratorBaseEdENKUlvE_clEvENKUlvE0_clEvEUlfE_St5arrayIPcLm2EEEEviT0_T1_,@function
_ZN2at6native29vectorized_elementwise_kernelILi2EZZZNS0_12_GLOBAL__N_124renorm_scale_factor_implERNS_18TensorIteratorBaseEdENKUlvE_clEvENKUlvE0_clEvEUlfE_St5arrayIPcLm2EEEEviT0_T1_: ; @_ZN2at6native29vectorized_elementwise_kernelILi2EZZZNS0_12_GLOBAL__N_124renorm_scale_factor_implERNS_18TensorIteratorBaseEdENKUlvE_clEvENKUlvE0_clEvEUlfE_St5arrayIPcLm2EEEEviT0_T1_
; %bb.0:
	s_clause 0x1
	s_load_b64 s[8:9], s[0:1], 0x0
	s_load_b128 s[4:7], s[0:1], 0x8
	s_wait_xcnt 0x0
	s_bfe_u32 s0, ttmp6, 0x4000c
	s_and_b32 s1, ttmp6, 15
	s_add_co_i32 s0, s0, 1
	s_getreg_b32 s2, hwreg(HW_REG_IB_STS2, 6, 4)
	s_mul_i32 s0, ttmp9, s0
	s_delay_alu instid0(SALU_CYCLE_1) | instskip(SKIP_2) | instid1(SALU_CYCLE_1)
	s_add_co_i32 s1, s1, s0
	s_cmp_eq_u32 s2, 0
	s_cselect_b32 s0, ttmp9, s1
	s_lshl_b32 s2, s0, 10
	s_mov_b32 s0, -1
	s_wait_kmcnt 0x0
	s_sub_co_i32 s8, s8, s2
	s_delay_alu instid0(SALU_CYCLE_1)
	s_cmp_gt_i32 s8, 0x3ff
	s_cbranch_scc0 .LBB11_10
; %bb.1:
	s_ashr_i32 s3, s2, 31
	v_dual_mov_b32 v3, 1.0 :: v_dual_mov_b32 v2, 1.0
	s_lshl_b64 s[0:1], s[2:3], 2
	s_mov_b32 s3, exec_lo
	s_add_nc_u64 s[10:11], s[6:7], s[0:1]
	s_clause 0x1
	global_load_b64 v[6:7], v0, s[10:11] scale_offset
	global_load_b64 v[4:5], v0, s[10:11] offset:2048 scale_offset
	s_wait_loadcnt 0x1
	s_wait_xcnt 0x0
	v_cmpx_lt_f32_e32 s9, v6
	s_cbranch_execz .LBB11_3
; %bb.2:
	v_add_f32_e32 v1, 0x33d6bf95, v6
	s_delay_alu instid0(VALU_DEP_1) | instskip(NEXT) | instid1(VALU_DEP_1)
	v_div_scale_f32 v2, null, v1, v1, s9
	v_rcp_f32_e32 v6, v2
	v_nop
	s_delay_alu instid0(TRANS32_DEP_1) | instskip(NEXT) | instid1(VALU_DEP_1)
	v_fma_f32 v8, -v2, v6, 1.0
	v_fmac_f32_e32 v6, v8, v6
	v_div_scale_f32 v8, vcc_lo, s9, v1, s9
	s_delay_alu instid0(VALU_DEP_1) | instskip(NEXT) | instid1(VALU_DEP_1)
	v_mul_f32_e32 v9, v8, v6
	v_fma_f32 v10, -v2, v9, v8
	s_delay_alu instid0(VALU_DEP_1) | instskip(NEXT) | instid1(VALU_DEP_1)
	v_fmac_f32_e32 v9, v10, v6
	v_fma_f32 v2, -v2, v9, v8
	s_delay_alu instid0(VALU_DEP_1) | instskip(NEXT) | instid1(VALU_DEP_1)
	v_div_fmas_f32 v2, v2, v6, v9
	v_div_fixup_f32 v2, v2, v1, s9
.LBB11_3:
	s_or_b32 exec_lo, exec_lo, s3
	s_delay_alu instid0(SALU_CYCLE_1)
	s_mov_b32 s3, exec_lo
	v_cmpx_lt_f32_e32 s9, v7
	s_cbranch_execz .LBB11_5
; %bb.4:
	v_add_f32_e32 v1, 0x33d6bf95, v7
	s_delay_alu instid0(VALU_DEP_1) | instskip(NEXT) | instid1(VALU_DEP_1)
	v_div_scale_f32 v3, null, v1, v1, s9
	v_rcp_f32_e32 v6, v3
	v_nop
	s_delay_alu instid0(TRANS32_DEP_1) | instskip(NEXT) | instid1(VALU_DEP_1)
	v_fma_f32 v7, -v3, v6, 1.0
	v_fmac_f32_e32 v6, v7, v6
	v_div_scale_f32 v7, vcc_lo, s9, v1, s9
	s_delay_alu instid0(VALU_DEP_1) | instskip(NEXT) | instid1(VALU_DEP_1)
	v_mul_f32_e32 v8, v7, v6
	v_fma_f32 v9, -v3, v8, v7
	s_delay_alu instid0(VALU_DEP_1) | instskip(NEXT) | instid1(VALU_DEP_1)
	v_fmac_f32_e32 v8, v9, v6
	v_fma_f32 v3, -v3, v8, v7
	s_delay_alu instid0(VALU_DEP_1) | instskip(NEXT) | instid1(VALU_DEP_1)
	v_div_fmas_f32 v3, v3, v6, v8
	v_div_fixup_f32 v3, v3, v1, s9
.LBB11_5:
	s_or_b32 exec_lo, exec_lo, s3
	v_dual_mov_b32 v7, 1.0 :: v_dual_mov_b32 v6, 1.0
	s_mov_b32 s3, exec_lo
	s_wait_loadcnt 0x0
	v_cmpx_lt_f32_e32 s9, v4
	s_cbranch_execz .LBB11_7
; %bb.6:
	v_add_f32_e32 v1, 0x33d6bf95, v4
	s_delay_alu instid0(VALU_DEP_1) | instskip(NEXT) | instid1(VALU_DEP_1)
	v_div_scale_f32 v4, null, v1, v1, s9
	v_rcp_f32_e32 v6, v4
	v_nop
	s_delay_alu instid0(TRANS32_DEP_1) | instskip(NEXT) | instid1(VALU_DEP_1)
	v_fma_f32 v8, -v4, v6, 1.0
	v_fmac_f32_e32 v6, v8, v6
	v_div_scale_f32 v8, vcc_lo, s9, v1, s9
	s_delay_alu instid0(VALU_DEP_1) | instskip(NEXT) | instid1(VALU_DEP_1)
	v_mul_f32_e32 v9, v8, v6
	v_fma_f32 v10, -v4, v9, v8
	s_delay_alu instid0(VALU_DEP_1) | instskip(NEXT) | instid1(VALU_DEP_1)
	v_fmac_f32_e32 v9, v10, v6
	v_fma_f32 v4, -v4, v9, v8
	s_delay_alu instid0(VALU_DEP_1) | instskip(NEXT) | instid1(VALU_DEP_1)
	v_div_fmas_f32 v4, v4, v6, v9
	v_div_fixup_f32 v6, v4, v1, s9
.LBB11_7:
	s_or_b32 exec_lo, exec_lo, s3
	s_delay_alu instid0(SALU_CYCLE_1)
	s_mov_b32 s3, exec_lo
	v_cmpx_lt_f32_e32 s9, v5
	s_cbranch_execz .LBB11_9
; %bb.8:
	v_add_f32_e32 v1, 0x33d6bf95, v5
	s_delay_alu instid0(VALU_DEP_1) | instskip(NEXT) | instid1(VALU_DEP_1)
	v_div_scale_f32 v4, null, v1, v1, s9
	v_rcp_f32_e32 v5, v4
	v_nop
	s_delay_alu instid0(TRANS32_DEP_1) | instskip(NEXT) | instid1(VALU_DEP_1)
	v_fma_f32 v7, -v4, v5, 1.0
	v_fmac_f32_e32 v5, v7, v5
	v_div_scale_f32 v7, vcc_lo, s9, v1, s9
	s_delay_alu instid0(VALU_DEP_1) | instskip(NEXT) | instid1(VALU_DEP_1)
	v_mul_f32_e32 v8, v7, v5
	v_fma_f32 v9, -v4, v8, v7
	s_delay_alu instid0(VALU_DEP_1) | instskip(NEXT) | instid1(VALU_DEP_1)
	v_fmac_f32_e32 v8, v9, v5
	v_fma_f32 v4, -v4, v8, v7
	s_delay_alu instid0(VALU_DEP_1) | instskip(NEXT) | instid1(VALU_DEP_1)
	v_div_fmas_f32 v4, v4, v5, v8
	v_div_fixup_f32 v7, v4, v1, s9
.LBB11_9:
	s_or_b32 exec_lo, exec_lo, s3
	s_add_nc_u64 s[10:11], s[4:5], s[0:1]
	s_mov_b32 s0, 0
	s_clause 0x1
	global_store_b64 v0, v[2:3], s[10:11] scale_offset
	global_store_b64 v0, v[6:7], s[10:11] offset:2048 scale_offset
.LBB11_10:
	s_and_b32 vcc_lo, exec_lo, s0
	s_cbranch_vccz .LBB11_37
; %bb.11:
	v_cmp_gt_i32_e64 s0, s8, v0
	v_dual_mov_b32 v9, 0 :: v_dual_bitop2_b32 v5, s2, v0 bitop3:0x54
	s_wait_xcnt 0x0
	v_or_b32_e32 v6, 0x100, v0
	v_dual_mov_b32 v10, 0 :: v_dual_mov_b32 v1, v0
	s_and_saveexec_b32 s1, s0
	s_cbranch_execz .LBB11_13
; %bb.12:
	global_load_b32 v10, v5, s[6:7] scale_offset
	v_or_b32_e32 v1, 0x100, v0
.LBB11_13:
	s_wait_xcnt 0x0
	s_or_b32 exec_lo, exec_lo, s1
	s_delay_alu instid0(SALU_CYCLE_1) | instskip(NEXT) | instid1(VALU_DEP_1)
	s_mov_b32 s1, exec_lo
	v_cmpx_gt_i32_e64 s8, v1
	s_cbranch_execz .LBB11_15
; %bb.14:
	v_add_nc_u32_e32 v2, s2, v1
	v_add_nc_u32_e32 v1, 0x100, v1
	global_load_b32 v9, v2, s[6:7] scale_offset
.LBB11_15:
	s_wait_xcnt 0x0
	s_or_b32 exec_lo, exec_lo, s1
	v_dual_mov_b32 v7, 0 :: v_dual_mov_b32 v8, 0
	s_mov_b32 s1, exec_lo
	v_cmpx_gt_i32_e64 s8, v1
	s_cbranch_execz .LBB11_17
; %bb.16:
	v_add_nc_u32_e32 v2, s2, v1
	v_add_nc_u32_e32 v1, 0x100, v1
	global_load_b32 v8, v2, s[6:7] scale_offset
.LBB11_17:
	s_wait_xcnt 0x0
	s_or_b32 exec_lo, exec_lo, s1
	s_delay_alu instid0(SALU_CYCLE_1)
	s_mov_b32 s1, exec_lo
	v_cmpx_gt_i32_e64 s8, v1
	s_cbranch_execz .LBB11_19
; %bb.18:
	v_add_nc_u32_e32 v1, s2, v1
	global_load_b32 v7, v1, s[6:7] scale_offset
.LBB11_19:
	s_wait_xcnt 0x0
	s_or_b32 exec_lo, exec_lo, s1
	v_mov_b32_e32 v2, 0
	s_delay_alu instid0(VALU_DEP_1)
	v_dual_mov_b32 v1, v2 :: v_dual_mov_b32 v4, v2
	v_mov_b32_e32 v3, v2
	s_and_saveexec_b32 s1, s0
	s_cbranch_execz .LBB11_23
; %bb.20:
	v_mov_b32_e32 v2, 1.0
	s_mov_b32 s3, exec_lo
	s_wait_loadcnt 0x0
	v_cmpx_lt_f32_e32 s9, v10
	s_cbranch_execz .LBB11_22
; %bb.21:
	v_add_f32_e32 v1, 0x33d6bf95, v10
	s_delay_alu instid0(VALU_DEP_1) | instskip(NEXT) | instid1(VALU_DEP_1)
	v_div_scale_f32 v2, null, v1, v1, s9
	v_rcp_f32_e32 v3, v2
	v_nop
	s_delay_alu instid0(TRANS32_DEP_1) | instskip(NEXT) | instid1(VALU_DEP_1)
	v_fma_f32 v4, -v2, v3, 1.0
	v_fmac_f32_e32 v3, v4, v3
	v_div_scale_f32 v4, vcc_lo, s9, v1, s9
	s_delay_alu instid0(VALU_DEP_1) | instskip(NEXT) | instid1(VALU_DEP_1)
	v_mul_f32_e32 v10, v4, v3
	v_fma_f32 v11, -v2, v10, v4
	s_delay_alu instid0(VALU_DEP_1) | instskip(NEXT) | instid1(VALU_DEP_1)
	v_fmac_f32_e32 v10, v11, v3
	v_fma_f32 v2, -v2, v10, v4
	s_delay_alu instid0(VALU_DEP_1) | instskip(NEXT) | instid1(VALU_DEP_1)
	v_div_fmas_f32 v2, v2, v3, v10
	v_div_fixup_f32 v2, v2, v1, s9
.LBB11_22:
	s_or_b32 exec_lo, exec_lo, s3
	v_mov_b32_e32 v1, 0
	s_delay_alu instid0(VALU_DEP_1)
	v_dual_mov_b32 v4, v1 :: v_dual_mov_b32 v3, v1
.LBB11_23:
	s_or_b32 exec_lo, exec_lo, s1
	s_delay_alu instid0(SALU_CYCLE_1)
	s_mov_b32 s1, exec_lo
	v_cmpx_gt_i32_e64 s8, v6
	s_cbranch_execz .LBB11_27
; %bb.24:
	v_mov_b32_e32 v1, 1.0
	s_mov_b32 s3, exec_lo
	s_wait_loadcnt 0x0
	v_cmpx_lt_f32_e32 s9, v9
	s_cbranch_execz .LBB11_26
; %bb.25:
	v_add_f32_e32 v1, 0x33d6bf95, v9
	s_delay_alu instid0(VALU_DEP_1) | instskip(NEXT) | instid1(VALU_DEP_1)
	v_div_scale_f32 v9, null, v1, v1, s9
	v_rcp_f32_e32 v10, v9
	v_nop
	s_delay_alu instid0(TRANS32_DEP_1) | instskip(NEXT) | instid1(VALU_DEP_1)
	v_fma_f32 v11, -v9, v10, 1.0
	v_fmac_f32_e32 v10, v11, v10
	v_div_scale_f32 v11, vcc_lo, s9, v1, s9
	s_delay_alu instid0(VALU_DEP_1) | instskip(NEXT) | instid1(VALU_DEP_1)
	v_mul_f32_e32 v12, v11, v10
	v_fma_f32 v13, -v9, v12, v11
	s_delay_alu instid0(VALU_DEP_1) | instskip(NEXT) | instid1(VALU_DEP_1)
	v_fmac_f32_e32 v12, v13, v10
	v_fma_f32 v9, -v9, v12, v11
	s_delay_alu instid0(VALU_DEP_1) | instskip(NEXT) | instid1(VALU_DEP_1)
	v_div_fmas_f32 v9, v9, v10, v12
	v_div_fixup_f32 v1, v9, v1, s9
.LBB11_26:
	s_or_b32 exec_lo, exec_lo, s3
.LBB11_27:
	s_delay_alu instid0(SALU_CYCLE_1) | instskip(SKIP_3) | instid1(VALU_DEP_1)
	s_or_b32 exec_lo, exec_lo, s1
	s_wait_loadcnt 0x0
	v_or_b32_e32 v9, 0x200, v0
	s_mov_b32 s1, exec_lo
	v_cmpx_gt_i32_e64 s8, v9
	s_cbranch_execz .LBB11_31
; %bb.28:
	v_mov_b32_e32 v4, 1.0
	s_mov_b32 s3, exec_lo
	v_cmpx_lt_f32_e32 s9, v8
	s_cbranch_execz .LBB11_30
; %bb.29:
	v_add_f32_e32 v4, 0x33d6bf95, v8
	s_delay_alu instid0(VALU_DEP_1) | instskip(NEXT) | instid1(VALU_DEP_1)
	v_div_scale_f32 v8, null, v4, v4, s9
	v_rcp_f32_e32 v9, v8
	v_nop
	s_delay_alu instid0(TRANS32_DEP_1) | instskip(NEXT) | instid1(VALU_DEP_1)
	v_fma_f32 v10, -v8, v9, 1.0
	v_fmac_f32_e32 v9, v10, v9
	v_div_scale_f32 v10, vcc_lo, s9, v4, s9
	s_delay_alu instid0(VALU_DEP_1) | instskip(NEXT) | instid1(VALU_DEP_1)
	v_mul_f32_e32 v11, v10, v9
	v_fma_f32 v12, -v8, v11, v10
	s_delay_alu instid0(VALU_DEP_1) | instskip(NEXT) | instid1(VALU_DEP_1)
	v_fmac_f32_e32 v11, v12, v9
	v_fma_f32 v8, -v8, v11, v10
	s_delay_alu instid0(VALU_DEP_1) | instskip(NEXT) | instid1(VALU_DEP_1)
	v_div_fmas_f32 v8, v8, v9, v11
	v_div_fixup_f32 v4, v8, v4, s9
.LBB11_30:
	s_or_b32 exec_lo, exec_lo, s3
.LBB11_31:
	s_delay_alu instid0(SALU_CYCLE_1) | instskip(SKIP_2) | instid1(VALU_DEP_1)
	s_or_b32 exec_lo, exec_lo, s1
	v_or_b32_e32 v8, 0x300, v0
	s_mov_b32 s1, exec_lo
	v_cmpx_gt_i32_e64 s8, v8
	s_cbranch_execnz .LBB11_38
; %bb.32:
	s_or_b32 exec_lo, exec_lo, s1
	s_and_saveexec_b32 s1, s0
	s_delay_alu instid0(SALU_CYCLE_1)
	s_xor_b32 s0, exec_lo, s1
	s_cbranch_execnz .LBB11_41
.LBB11_33:
	s_or_b32 exec_lo, exec_lo, s0
	s_delay_alu instid0(SALU_CYCLE_1)
	s_mov_b32 s0, exec_lo
	v_cmpx_gt_i32_e64 s8, v0
	s_cbranch_execnz .LBB11_42
.LBB11_34:
	s_or_b32 exec_lo, exec_lo, s0
	s_delay_alu instid0(SALU_CYCLE_1)
	s_mov_b32 s0, exec_lo
	v_cmpx_gt_i32_e64 s8, v0
	s_cbranch_execnz .LBB11_43
.LBB11_35:
	s_or_b32 exec_lo, exec_lo, s0
	s_delay_alu instid0(SALU_CYCLE_1)
	s_mov_b32 s0, exec_lo
	v_cmpx_gt_i32_e64 s8, v0
	s_cbranch_execz .LBB11_37
.LBB11_36:
	v_add_nc_u32_e32 v0, s2, v0
	global_store_b32 v0, v3, s[4:5] scale_offset
.LBB11_37:
	s_endpgm
.LBB11_38:
	v_mov_b32_e32 v3, 1.0
	s_mov_b32 s3, exec_lo
	v_cmpx_lt_f32_e32 s9, v7
	s_cbranch_execz .LBB11_40
; %bb.39:
	v_add_f32_e32 v3, 0x33d6bf95, v7
	s_delay_alu instid0(VALU_DEP_1) | instskip(NEXT) | instid1(VALU_DEP_1)
	v_div_scale_f32 v7, null, v3, v3, s9
	v_rcp_f32_e32 v8, v7
	v_nop
	s_delay_alu instid0(TRANS32_DEP_1) | instskip(NEXT) | instid1(VALU_DEP_1)
	v_fma_f32 v9, -v7, v8, 1.0
	v_fmac_f32_e32 v8, v9, v8
	v_div_scale_f32 v9, vcc_lo, s9, v3, s9
	s_delay_alu instid0(VALU_DEP_1) | instskip(NEXT) | instid1(VALU_DEP_1)
	v_mul_f32_e32 v10, v9, v8
	v_fma_f32 v11, -v7, v10, v9
	s_delay_alu instid0(VALU_DEP_1) | instskip(NEXT) | instid1(VALU_DEP_1)
	v_fmac_f32_e32 v10, v11, v8
	v_fma_f32 v7, -v7, v10, v9
	s_delay_alu instid0(VALU_DEP_1) | instskip(NEXT) | instid1(VALU_DEP_1)
	v_div_fmas_f32 v7, v7, v8, v10
	v_div_fixup_f32 v3, v7, v3, s9
.LBB11_40:
	s_or_b32 exec_lo, exec_lo, s3
	s_delay_alu instid0(SALU_CYCLE_1) | instskip(SKIP_1) | instid1(SALU_CYCLE_1)
	s_or_b32 exec_lo, exec_lo, s1
	s_and_saveexec_b32 s1, s0
	s_xor_b32 s0, exec_lo, s1
	s_cbranch_execz .LBB11_33
.LBB11_41:
	v_mov_b32_e32 v0, v6
	global_store_b32 v5, v2, s[4:5] scale_offset
	s_wait_xcnt 0x0
	s_or_b32 exec_lo, exec_lo, s0
	s_delay_alu instid0(SALU_CYCLE_1)
	s_mov_b32 s0, exec_lo
	v_cmpx_gt_i32_e64 s8, v0
	s_cbranch_execz .LBB11_34
.LBB11_42:
	v_add_nc_u32_e32 v2, s2, v0
	v_add_nc_u32_e32 v0, 0x100, v0
	global_store_b32 v2, v1, s[4:5] scale_offset
	s_wait_xcnt 0x0
	s_or_b32 exec_lo, exec_lo, s0
	s_delay_alu instid0(SALU_CYCLE_1)
	s_mov_b32 s0, exec_lo
	v_cmpx_gt_i32_e64 s8, v0
	s_cbranch_execz .LBB11_35
.LBB11_43:
	v_add_nc_u32_e32 v1, s2, v0
	v_add_nc_u32_e32 v0, 0x100, v0
	global_store_b32 v1, v4, s[4:5] scale_offset
	s_wait_xcnt 0x0
	s_or_b32 exec_lo, exec_lo, s0
	s_delay_alu instid0(SALU_CYCLE_1)
	s_mov_b32 s0, exec_lo
	v_cmpx_gt_i32_e64 s8, v0
	s_cbranch_execnz .LBB11_36
	s_branch .LBB11_37
	.section	.rodata,"a",@progbits
	.p2align	6, 0x0
	.amdhsa_kernel _ZN2at6native29vectorized_elementwise_kernelILi2EZZZNS0_12_GLOBAL__N_124renorm_scale_factor_implERNS_18TensorIteratorBaseEdENKUlvE_clEvENKUlvE0_clEvEUlfE_St5arrayIPcLm2EEEEviT0_T1_
		.amdhsa_group_segment_fixed_size 0
		.amdhsa_private_segment_fixed_size 0
		.amdhsa_kernarg_size 24
		.amdhsa_user_sgpr_count 2
		.amdhsa_user_sgpr_dispatch_ptr 0
		.amdhsa_user_sgpr_queue_ptr 0
		.amdhsa_user_sgpr_kernarg_segment_ptr 1
		.amdhsa_user_sgpr_dispatch_id 0
		.amdhsa_user_sgpr_kernarg_preload_length 0
		.amdhsa_user_sgpr_kernarg_preload_offset 0
		.amdhsa_user_sgpr_private_segment_size 0
		.amdhsa_wavefront_size32 1
		.amdhsa_uses_dynamic_stack 0
		.amdhsa_enable_private_segment 0
		.amdhsa_system_sgpr_workgroup_id_x 1
		.amdhsa_system_sgpr_workgroup_id_y 0
		.amdhsa_system_sgpr_workgroup_id_z 0
		.amdhsa_system_sgpr_workgroup_info 0
		.amdhsa_system_vgpr_workitem_id 0
		.amdhsa_next_free_vgpr 14
		.amdhsa_next_free_sgpr 12
		.amdhsa_named_barrier_count 0
		.amdhsa_reserve_vcc 1
		.amdhsa_float_round_mode_32 0
		.amdhsa_float_round_mode_16_64 0
		.amdhsa_float_denorm_mode_32 3
		.amdhsa_float_denorm_mode_16_64 3
		.amdhsa_fp16_overflow 0
		.amdhsa_memory_ordered 1
		.amdhsa_forward_progress 1
		.amdhsa_inst_pref_size 15
		.amdhsa_round_robin_scheduling 0
		.amdhsa_exception_fp_ieee_invalid_op 0
		.amdhsa_exception_fp_denorm_src 0
		.amdhsa_exception_fp_ieee_div_zero 0
		.amdhsa_exception_fp_ieee_overflow 0
		.amdhsa_exception_fp_ieee_underflow 0
		.amdhsa_exception_fp_ieee_inexact 0
		.amdhsa_exception_int_div_zero 0
	.end_amdhsa_kernel
	.section	.text._ZN2at6native29vectorized_elementwise_kernelILi2EZZZNS0_12_GLOBAL__N_124renorm_scale_factor_implERNS_18TensorIteratorBaseEdENKUlvE_clEvENKUlvE0_clEvEUlfE_St5arrayIPcLm2EEEEviT0_T1_,"axG",@progbits,_ZN2at6native29vectorized_elementwise_kernelILi2EZZZNS0_12_GLOBAL__N_124renorm_scale_factor_implERNS_18TensorIteratorBaseEdENKUlvE_clEvENKUlvE0_clEvEUlfE_St5arrayIPcLm2EEEEviT0_T1_,comdat
.Lfunc_end11:
	.size	_ZN2at6native29vectorized_elementwise_kernelILi2EZZZNS0_12_GLOBAL__N_124renorm_scale_factor_implERNS_18TensorIteratorBaseEdENKUlvE_clEvENKUlvE0_clEvEUlfE_St5arrayIPcLm2EEEEviT0_T1_, .Lfunc_end11-_ZN2at6native29vectorized_elementwise_kernelILi2EZZZNS0_12_GLOBAL__N_124renorm_scale_factor_implERNS_18TensorIteratorBaseEdENKUlvE_clEvENKUlvE0_clEvEUlfE_St5arrayIPcLm2EEEEviT0_T1_
                                        ; -- End function
	.set _ZN2at6native29vectorized_elementwise_kernelILi2EZZZNS0_12_GLOBAL__N_124renorm_scale_factor_implERNS_18TensorIteratorBaseEdENKUlvE_clEvENKUlvE0_clEvEUlfE_St5arrayIPcLm2EEEEviT0_T1_.num_vgpr, 14
	.set _ZN2at6native29vectorized_elementwise_kernelILi2EZZZNS0_12_GLOBAL__N_124renorm_scale_factor_implERNS_18TensorIteratorBaseEdENKUlvE_clEvENKUlvE0_clEvEUlfE_St5arrayIPcLm2EEEEviT0_T1_.num_agpr, 0
	.set _ZN2at6native29vectorized_elementwise_kernelILi2EZZZNS0_12_GLOBAL__N_124renorm_scale_factor_implERNS_18TensorIteratorBaseEdENKUlvE_clEvENKUlvE0_clEvEUlfE_St5arrayIPcLm2EEEEviT0_T1_.numbered_sgpr, 12
	.set _ZN2at6native29vectorized_elementwise_kernelILi2EZZZNS0_12_GLOBAL__N_124renorm_scale_factor_implERNS_18TensorIteratorBaseEdENKUlvE_clEvENKUlvE0_clEvEUlfE_St5arrayIPcLm2EEEEviT0_T1_.num_named_barrier, 0
	.set _ZN2at6native29vectorized_elementwise_kernelILi2EZZZNS0_12_GLOBAL__N_124renorm_scale_factor_implERNS_18TensorIteratorBaseEdENKUlvE_clEvENKUlvE0_clEvEUlfE_St5arrayIPcLm2EEEEviT0_T1_.private_seg_size, 0
	.set _ZN2at6native29vectorized_elementwise_kernelILi2EZZZNS0_12_GLOBAL__N_124renorm_scale_factor_implERNS_18TensorIteratorBaseEdENKUlvE_clEvENKUlvE0_clEvEUlfE_St5arrayIPcLm2EEEEviT0_T1_.uses_vcc, 1
	.set _ZN2at6native29vectorized_elementwise_kernelILi2EZZZNS0_12_GLOBAL__N_124renorm_scale_factor_implERNS_18TensorIteratorBaseEdENKUlvE_clEvENKUlvE0_clEvEUlfE_St5arrayIPcLm2EEEEviT0_T1_.uses_flat_scratch, 0
	.set _ZN2at6native29vectorized_elementwise_kernelILi2EZZZNS0_12_GLOBAL__N_124renorm_scale_factor_implERNS_18TensorIteratorBaseEdENKUlvE_clEvENKUlvE0_clEvEUlfE_St5arrayIPcLm2EEEEviT0_T1_.has_dyn_sized_stack, 0
	.set _ZN2at6native29vectorized_elementwise_kernelILi2EZZZNS0_12_GLOBAL__N_124renorm_scale_factor_implERNS_18TensorIteratorBaseEdENKUlvE_clEvENKUlvE0_clEvEUlfE_St5arrayIPcLm2EEEEviT0_T1_.has_recursion, 0
	.set _ZN2at6native29vectorized_elementwise_kernelILi2EZZZNS0_12_GLOBAL__N_124renorm_scale_factor_implERNS_18TensorIteratorBaseEdENKUlvE_clEvENKUlvE0_clEvEUlfE_St5arrayIPcLm2EEEEviT0_T1_.has_indirect_call, 0
	.section	.AMDGPU.csdata,"",@progbits
; Kernel info:
; codeLenInByte = 1848
; TotalNumSgprs: 14
; NumVgprs: 14
; ScratchSize: 0
; MemoryBound: 0
; FloatMode: 240
; IeeeMode: 1
; LDSByteSize: 0 bytes/workgroup (compile time only)
; SGPRBlocks: 0
; VGPRBlocks: 0
; NumSGPRsForWavesPerEU: 14
; NumVGPRsForWavesPerEU: 14
; NamedBarCnt: 0
; Occupancy: 16
; WaveLimiterHint : 1
; COMPUTE_PGM_RSRC2:SCRATCH_EN: 0
; COMPUTE_PGM_RSRC2:USER_SGPR: 2
; COMPUTE_PGM_RSRC2:TRAP_HANDLER: 0
; COMPUTE_PGM_RSRC2:TGID_X_EN: 1
; COMPUTE_PGM_RSRC2:TGID_Y_EN: 0
; COMPUTE_PGM_RSRC2:TGID_Z_EN: 0
; COMPUTE_PGM_RSRC2:TIDIG_COMP_CNT: 0
	.section	.text._ZN2at6native27unrolled_elementwise_kernelIZZZNS0_12_GLOBAL__N_124renorm_scale_factor_implERNS_18TensorIteratorBaseEdENKUlvE_clEvENKUlvE0_clEvEUlfE_St5arrayIPcLm2EELi4E23TrivialOffsetCalculatorILi1EjESC_NS0_6memory15LoadWithoutCastENSD_16StoreWithoutCastEEEviT_T0_T2_T3_T4_T5_,"axG",@progbits,_ZN2at6native27unrolled_elementwise_kernelIZZZNS0_12_GLOBAL__N_124renorm_scale_factor_implERNS_18TensorIteratorBaseEdENKUlvE_clEvENKUlvE0_clEvEUlfE_St5arrayIPcLm2EELi4E23TrivialOffsetCalculatorILi1EjESC_NS0_6memory15LoadWithoutCastENSD_16StoreWithoutCastEEEviT_T0_T2_T3_T4_T5_,comdat
	.globl	_ZN2at6native27unrolled_elementwise_kernelIZZZNS0_12_GLOBAL__N_124renorm_scale_factor_implERNS_18TensorIteratorBaseEdENKUlvE_clEvENKUlvE0_clEvEUlfE_St5arrayIPcLm2EELi4E23TrivialOffsetCalculatorILi1EjESC_NS0_6memory15LoadWithoutCastENSD_16StoreWithoutCastEEEviT_T0_T2_T3_T4_T5_ ; -- Begin function _ZN2at6native27unrolled_elementwise_kernelIZZZNS0_12_GLOBAL__N_124renorm_scale_factor_implERNS_18TensorIteratorBaseEdENKUlvE_clEvENKUlvE0_clEvEUlfE_St5arrayIPcLm2EELi4E23TrivialOffsetCalculatorILi1EjESC_NS0_6memory15LoadWithoutCastENSD_16StoreWithoutCastEEEviT_T0_T2_T3_T4_T5_
	.p2align	8
	.type	_ZN2at6native27unrolled_elementwise_kernelIZZZNS0_12_GLOBAL__N_124renorm_scale_factor_implERNS_18TensorIteratorBaseEdENKUlvE_clEvENKUlvE0_clEvEUlfE_St5arrayIPcLm2EELi4E23TrivialOffsetCalculatorILi1EjESC_NS0_6memory15LoadWithoutCastENSD_16StoreWithoutCastEEEviT_T0_T2_T3_T4_T5_,@function
_ZN2at6native27unrolled_elementwise_kernelIZZZNS0_12_GLOBAL__N_124renorm_scale_factor_implERNS_18TensorIteratorBaseEdENKUlvE_clEvENKUlvE0_clEvEUlfE_St5arrayIPcLm2EELi4E23TrivialOffsetCalculatorILi1EjESC_NS0_6memory15LoadWithoutCastENSD_16StoreWithoutCastEEEviT_T0_T2_T3_T4_T5_: ; @_ZN2at6native27unrolled_elementwise_kernelIZZZNS0_12_GLOBAL__N_124renorm_scale_factor_implERNS_18TensorIteratorBaseEdENKUlvE_clEvENKUlvE0_clEvEUlfE_St5arrayIPcLm2EELi4E23TrivialOffsetCalculatorILi1EjESC_NS0_6memory15LoadWithoutCastENSD_16StoreWithoutCastEEEviT_T0_T2_T3_T4_T5_
; %bb.0:
	s_clause 0x1
	s_load_b64 s[2:3], s[0:1], 0x0
	s_load_b128 s[4:7], s[0:1], 0x8
	s_bfe_u32 s8, ttmp6, 0x4000c
	s_wait_xcnt 0x0
	s_and_b32 s0, ttmp6, 15
	s_add_co_i32 s8, s8, 1
	v_dual_mov_b32 v8, 0 :: v_dual_mov_b32 v10, 0
	s_mul_i32 s1, ttmp9, s8
	s_getreg_b32 s8, hwreg(HW_REG_IB_STS2, 6, 4)
	s_add_co_i32 s0, s0, s1
	s_cmp_eq_u32 s8, 0
	v_or_b32_e32 v5, 0x100, v0
	s_cselect_b32 s0, ttmp9, s0
	v_mov_b32_e32 v1, v0
	s_lshl_b32 s1, s0, 10
	s_delay_alu instid0(SALU_CYCLE_1) | instskip(SKIP_2) | instid1(SALU_CYCLE_1)
	v_or_b32_e32 v6, s1, v0
	s_wait_kmcnt 0x0
	s_sub_co_i32 s2, s2, s1
	v_cmp_gt_i32_e64 s0, s2, v0
	s_and_saveexec_b32 s8, s0
	s_cbranch_execz .LBB12_2
; %bb.1:
	global_load_b32 v10, v6, s[6:7] scale_offset
	v_or_b32_e32 v1, 0x100, v0
.LBB12_2:
	s_wait_xcnt 0x0
	s_or_b32 exec_lo, exec_lo, s8
	s_delay_alu instid0(SALU_CYCLE_1) | instskip(NEXT) | instid1(VALU_DEP_1)
	s_mov_b32 s8, exec_lo
	v_cmpx_gt_i32_e64 s2, v1
	s_cbranch_execz .LBB12_4
; %bb.3:
	v_add_nc_u32_e32 v2, s1, v1
	v_add_nc_u32_e32 v1, 0x100, v1
	global_load_b32 v8, v2, s[6:7] scale_offset
.LBB12_4:
	s_wait_xcnt 0x0
	s_or_b32 exec_lo, exec_lo, s8
	v_dual_mov_b32 v7, 0 :: v_dual_mov_b32 v9, 0
	s_mov_b32 s8, exec_lo
	v_cmpx_gt_i32_e64 s2, v1
	s_cbranch_execz .LBB12_6
; %bb.5:
	v_add_nc_u32_e32 v2, s1, v1
	v_add_nc_u32_e32 v1, 0x100, v1
	global_load_b32 v9, v2, s[6:7] scale_offset
.LBB12_6:
	s_wait_xcnt 0x0
	s_or_b32 exec_lo, exec_lo, s8
	s_delay_alu instid0(SALU_CYCLE_1)
	s_mov_b32 s8, exec_lo
	v_cmpx_gt_i32_e64 s2, v1
	s_cbranch_execz .LBB12_8
; %bb.7:
	v_add_nc_u32_e32 v1, s1, v1
	global_load_b32 v7, v1, s[6:7] scale_offset
.LBB12_8:
	s_wait_xcnt 0x0
	s_or_b32 exec_lo, exec_lo, s8
	v_mov_b32_e32 v2, 0
	s_delay_alu instid0(VALU_DEP_1)
	v_dual_mov_b32 v1, v2 :: v_dual_mov_b32 v4, v2
	v_mov_b32_e32 v3, v2
	s_and_saveexec_b32 s6, s0
	s_cbranch_execz .LBB12_12
; %bb.9:
	v_mov_b32_e32 v2, 1.0
	s_mov_b32 s7, exec_lo
	s_wait_loadcnt 0x0
	v_cmpx_lt_f32_e32 s3, v10
	s_cbranch_execz .LBB12_11
; %bb.10:
	v_add_f32_e32 v1, 0x33d6bf95, v10
	s_delay_alu instid0(VALU_DEP_1) | instskip(NEXT) | instid1(VALU_DEP_1)
	v_div_scale_f32 v2, null, v1, v1, s3
	v_rcp_f32_e32 v3, v2
	v_nop
	s_delay_alu instid0(TRANS32_DEP_1) | instskip(NEXT) | instid1(VALU_DEP_1)
	v_fma_f32 v4, -v2, v3, 1.0
	v_fmac_f32_e32 v3, v4, v3
	v_div_scale_f32 v4, vcc_lo, s3, v1, s3
	s_delay_alu instid0(VALU_DEP_1) | instskip(NEXT) | instid1(VALU_DEP_1)
	v_mul_f32_e32 v10, v4, v3
	v_fma_f32 v11, -v2, v10, v4
	s_delay_alu instid0(VALU_DEP_1) | instskip(NEXT) | instid1(VALU_DEP_1)
	v_fmac_f32_e32 v10, v11, v3
	v_fma_f32 v2, -v2, v10, v4
	s_delay_alu instid0(VALU_DEP_1) | instskip(NEXT) | instid1(VALU_DEP_1)
	v_div_fmas_f32 v2, v2, v3, v10
	v_div_fixup_f32 v2, v2, v1, s3
.LBB12_11:
	s_or_b32 exec_lo, exec_lo, s7
	v_mov_b32_e32 v1, 0
	s_delay_alu instid0(VALU_DEP_1)
	v_dual_mov_b32 v4, v1 :: v_dual_mov_b32 v3, v1
.LBB12_12:
	s_or_b32 exec_lo, exec_lo, s6
	s_delay_alu instid0(SALU_CYCLE_1)
	s_mov_b32 s6, exec_lo
	v_cmpx_gt_i32_e64 s2, v5
	s_cbranch_execz .LBB12_16
; %bb.13:
	v_mov_b32_e32 v1, 1.0
	s_mov_b32 s7, exec_lo
	s_wait_loadcnt 0x0
	v_cmpx_lt_f32_e32 s3, v8
	s_cbranch_execz .LBB12_15
; %bb.14:
	v_add_f32_e32 v1, 0x33d6bf95, v8
	s_delay_alu instid0(VALU_DEP_1) | instskip(NEXT) | instid1(VALU_DEP_1)
	v_div_scale_f32 v8, null, v1, v1, s3
	v_rcp_f32_e32 v10, v8
	v_nop
	s_delay_alu instid0(TRANS32_DEP_1) | instskip(NEXT) | instid1(VALU_DEP_1)
	v_fma_f32 v11, -v8, v10, 1.0
	v_fmac_f32_e32 v10, v11, v10
	v_div_scale_f32 v11, vcc_lo, s3, v1, s3
	s_delay_alu instid0(VALU_DEP_1) | instskip(NEXT) | instid1(VALU_DEP_1)
	v_mul_f32_e32 v12, v11, v10
	v_fma_f32 v13, -v8, v12, v11
	s_delay_alu instid0(VALU_DEP_1) | instskip(NEXT) | instid1(VALU_DEP_1)
	v_fmac_f32_e32 v12, v13, v10
	v_fma_f32 v8, -v8, v12, v11
	s_delay_alu instid0(VALU_DEP_1) | instskip(NEXT) | instid1(VALU_DEP_1)
	v_div_fmas_f32 v8, v8, v10, v12
	v_div_fixup_f32 v1, v8, v1, s3
.LBB12_15:
	s_or_b32 exec_lo, exec_lo, s7
.LBB12_16:
	s_delay_alu instid0(SALU_CYCLE_1) | instskip(SKIP_3) | instid1(VALU_DEP_1)
	s_or_b32 exec_lo, exec_lo, s6
	s_wait_loadcnt 0x0
	v_or_b32_e32 v8, 0x200, v0
	s_mov_b32 s6, exec_lo
	v_cmpx_gt_i32_e64 s2, v8
	s_cbranch_execz .LBB12_20
; %bb.17:
	v_mov_b32_e32 v4, 1.0
	s_mov_b32 s7, exec_lo
	v_cmpx_lt_f32_e32 s3, v9
	s_cbranch_execz .LBB12_19
; %bb.18:
	v_add_f32_e32 v4, 0x33d6bf95, v9
	s_delay_alu instid0(VALU_DEP_1) | instskip(NEXT) | instid1(VALU_DEP_1)
	v_div_scale_f32 v8, null, v4, v4, s3
	v_rcp_f32_e32 v9, v8
	v_nop
	s_delay_alu instid0(TRANS32_DEP_1) | instskip(NEXT) | instid1(VALU_DEP_1)
	v_fma_f32 v10, -v8, v9, 1.0
	v_fmac_f32_e32 v9, v10, v9
	v_div_scale_f32 v10, vcc_lo, s3, v4, s3
	s_delay_alu instid0(VALU_DEP_1) | instskip(NEXT) | instid1(VALU_DEP_1)
	v_mul_f32_e32 v11, v10, v9
	v_fma_f32 v12, -v8, v11, v10
	s_delay_alu instid0(VALU_DEP_1) | instskip(NEXT) | instid1(VALU_DEP_1)
	v_fmac_f32_e32 v11, v12, v9
	v_fma_f32 v8, -v8, v11, v10
	s_delay_alu instid0(VALU_DEP_1) | instskip(NEXT) | instid1(VALU_DEP_1)
	v_div_fmas_f32 v8, v8, v9, v11
	v_div_fixup_f32 v4, v8, v4, s3
.LBB12_19:
	s_or_b32 exec_lo, exec_lo, s7
.LBB12_20:
	s_delay_alu instid0(SALU_CYCLE_1) | instskip(SKIP_2) | instid1(VALU_DEP_1)
	s_or_b32 exec_lo, exec_lo, s6
	v_or_b32_e32 v8, 0x300, v0
	s_mov_b32 s6, exec_lo
	v_cmpx_gt_i32_e64 s2, v8
	s_cbranch_execnz .LBB12_26
; %bb.21:
	s_or_b32 exec_lo, exec_lo, s6
	s_and_saveexec_b32 s3, s0
	s_delay_alu instid0(SALU_CYCLE_1)
	s_xor_b32 s0, exec_lo, s3
	s_cbranch_execnz .LBB12_29
.LBB12_22:
	s_or_b32 exec_lo, exec_lo, s0
	s_delay_alu instid0(SALU_CYCLE_1)
	s_mov_b32 s0, exec_lo
	v_cmpx_gt_i32_e64 s2, v0
	s_cbranch_execnz .LBB12_30
.LBB12_23:
	s_or_b32 exec_lo, exec_lo, s0
	s_delay_alu instid0(SALU_CYCLE_1)
	s_mov_b32 s0, exec_lo
	v_cmpx_gt_i32_e64 s2, v0
	s_cbranch_execnz .LBB12_31
.LBB12_24:
	s_or_b32 exec_lo, exec_lo, s0
	s_delay_alu instid0(SALU_CYCLE_1)
	s_mov_b32 s0, exec_lo
	v_cmpx_gt_i32_e64 s2, v0
	s_cbranch_execnz .LBB12_32
.LBB12_25:
	s_endpgm
.LBB12_26:
	v_mov_b32_e32 v3, 1.0
	s_mov_b32 s7, exec_lo
	v_cmpx_lt_f32_e32 s3, v7
	s_cbranch_execz .LBB12_28
; %bb.27:
	v_add_f32_e32 v3, 0x33d6bf95, v7
	s_delay_alu instid0(VALU_DEP_1) | instskip(NEXT) | instid1(VALU_DEP_1)
	v_div_scale_f32 v7, null, v3, v3, s3
	v_rcp_f32_e32 v8, v7
	v_nop
	s_delay_alu instid0(TRANS32_DEP_1) | instskip(NEXT) | instid1(VALU_DEP_1)
	v_fma_f32 v9, -v7, v8, 1.0
	v_fmac_f32_e32 v8, v9, v8
	v_div_scale_f32 v9, vcc_lo, s3, v3, s3
	s_delay_alu instid0(VALU_DEP_1) | instskip(NEXT) | instid1(VALU_DEP_1)
	v_mul_f32_e32 v10, v9, v8
	v_fma_f32 v11, -v7, v10, v9
	s_delay_alu instid0(VALU_DEP_1) | instskip(NEXT) | instid1(VALU_DEP_1)
	v_fmac_f32_e32 v10, v11, v8
	v_fma_f32 v7, -v7, v10, v9
	s_delay_alu instid0(VALU_DEP_1) | instskip(NEXT) | instid1(VALU_DEP_1)
	v_div_fmas_f32 v7, v7, v8, v10
	v_div_fixup_f32 v3, v7, v3, s3
.LBB12_28:
	s_or_b32 exec_lo, exec_lo, s7
	s_delay_alu instid0(SALU_CYCLE_1) | instskip(SKIP_1) | instid1(SALU_CYCLE_1)
	s_or_b32 exec_lo, exec_lo, s6
	s_and_saveexec_b32 s3, s0
	s_xor_b32 s0, exec_lo, s3
	s_cbranch_execz .LBB12_22
.LBB12_29:
	v_mov_b32_e32 v0, v5
	global_store_b32 v6, v2, s[4:5] scale_offset
	s_wait_xcnt 0x0
	s_or_b32 exec_lo, exec_lo, s0
	s_delay_alu instid0(SALU_CYCLE_1)
	s_mov_b32 s0, exec_lo
	v_cmpx_gt_i32_e64 s2, v0
	s_cbranch_execz .LBB12_23
.LBB12_30:
	v_add_nc_u32_e32 v2, 0x100, v0
	s_delay_alu instid0(VALU_DEP_1) | instskip(SKIP_3) | instid1(SALU_CYCLE_1)
	v_dual_mov_b32 v0, v2 :: v_dual_add_nc_u32 v5, s1, v0
	global_store_b32 v5, v1, s[4:5] scale_offset
	s_wait_xcnt 0x0
	s_or_b32 exec_lo, exec_lo, s0
	s_mov_b32 s0, exec_lo
	v_cmpx_gt_i32_e64 s2, v0
	s_cbranch_execz .LBB12_24
.LBB12_31:
	v_add_nc_u32_e32 v1, 0x100, v0
	s_delay_alu instid0(VALU_DEP_1) | instskip(SKIP_3) | instid1(SALU_CYCLE_1)
	v_dual_add_nc_u32 v2, s1, v0 :: v_dual_mov_b32 v0, v1
	global_store_b32 v2, v4, s[4:5] scale_offset
	s_wait_xcnt 0x0
	s_or_b32 exec_lo, exec_lo, s0
	s_mov_b32 s0, exec_lo
	v_cmpx_gt_i32_e64 s2, v0
	s_cbranch_execz .LBB12_25
.LBB12_32:
	v_add_nc_u32_e32 v0, s1, v0
	global_store_b32 v0, v3, s[4:5] scale_offset
	s_endpgm
	.section	.rodata,"a",@progbits
	.p2align	6, 0x0
	.amdhsa_kernel _ZN2at6native27unrolled_elementwise_kernelIZZZNS0_12_GLOBAL__N_124renorm_scale_factor_implERNS_18TensorIteratorBaseEdENKUlvE_clEvENKUlvE0_clEvEUlfE_St5arrayIPcLm2EELi4E23TrivialOffsetCalculatorILi1EjESC_NS0_6memory15LoadWithoutCastENSD_16StoreWithoutCastEEEviT_T0_T2_T3_T4_T5_
		.amdhsa_group_segment_fixed_size 0
		.amdhsa_private_segment_fixed_size 0
		.amdhsa_kernarg_size 28
		.amdhsa_user_sgpr_count 2
		.amdhsa_user_sgpr_dispatch_ptr 0
		.amdhsa_user_sgpr_queue_ptr 0
		.amdhsa_user_sgpr_kernarg_segment_ptr 1
		.amdhsa_user_sgpr_dispatch_id 0
		.amdhsa_user_sgpr_kernarg_preload_length 0
		.amdhsa_user_sgpr_kernarg_preload_offset 0
		.amdhsa_user_sgpr_private_segment_size 0
		.amdhsa_wavefront_size32 1
		.amdhsa_uses_dynamic_stack 0
		.amdhsa_enable_private_segment 0
		.amdhsa_system_sgpr_workgroup_id_x 1
		.amdhsa_system_sgpr_workgroup_id_y 0
		.amdhsa_system_sgpr_workgroup_id_z 0
		.amdhsa_system_sgpr_workgroup_info 0
		.amdhsa_system_vgpr_workitem_id 0
		.amdhsa_next_free_vgpr 14
		.amdhsa_next_free_sgpr 9
		.amdhsa_named_barrier_count 0
		.amdhsa_reserve_vcc 1
		.amdhsa_float_round_mode_32 0
		.amdhsa_float_round_mode_16_64 0
		.amdhsa_float_denorm_mode_32 3
		.amdhsa_float_denorm_mode_16_64 3
		.amdhsa_fp16_overflow 0
		.amdhsa_memory_ordered 1
		.amdhsa_forward_progress 1
		.amdhsa_inst_pref_size 10
		.amdhsa_round_robin_scheduling 0
		.amdhsa_exception_fp_ieee_invalid_op 0
		.amdhsa_exception_fp_denorm_src 0
		.amdhsa_exception_fp_ieee_div_zero 0
		.amdhsa_exception_fp_ieee_overflow 0
		.amdhsa_exception_fp_ieee_underflow 0
		.amdhsa_exception_fp_ieee_inexact 0
		.amdhsa_exception_int_div_zero 0
	.end_amdhsa_kernel
	.section	.text._ZN2at6native27unrolled_elementwise_kernelIZZZNS0_12_GLOBAL__N_124renorm_scale_factor_implERNS_18TensorIteratorBaseEdENKUlvE_clEvENKUlvE0_clEvEUlfE_St5arrayIPcLm2EELi4E23TrivialOffsetCalculatorILi1EjESC_NS0_6memory15LoadWithoutCastENSD_16StoreWithoutCastEEEviT_T0_T2_T3_T4_T5_,"axG",@progbits,_ZN2at6native27unrolled_elementwise_kernelIZZZNS0_12_GLOBAL__N_124renorm_scale_factor_implERNS_18TensorIteratorBaseEdENKUlvE_clEvENKUlvE0_clEvEUlfE_St5arrayIPcLm2EELi4E23TrivialOffsetCalculatorILi1EjESC_NS0_6memory15LoadWithoutCastENSD_16StoreWithoutCastEEEviT_T0_T2_T3_T4_T5_,comdat
.Lfunc_end12:
	.size	_ZN2at6native27unrolled_elementwise_kernelIZZZNS0_12_GLOBAL__N_124renorm_scale_factor_implERNS_18TensorIteratorBaseEdENKUlvE_clEvENKUlvE0_clEvEUlfE_St5arrayIPcLm2EELi4E23TrivialOffsetCalculatorILi1EjESC_NS0_6memory15LoadWithoutCastENSD_16StoreWithoutCastEEEviT_T0_T2_T3_T4_T5_, .Lfunc_end12-_ZN2at6native27unrolled_elementwise_kernelIZZZNS0_12_GLOBAL__N_124renorm_scale_factor_implERNS_18TensorIteratorBaseEdENKUlvE_clEvENKUlvE0_clEvEUlfE_St5arrayIPcLm2EELi4E23TrivialOffsetCalculatorILi1EjESC_NS0_6memory15LoadWithoutCastENSD_16StoreWithoutCastEEEviT_T0_T2_T3_T4_T5_
                                        ; -- End function
	.set _ZN2at6native27unrolled_elementwise_kernelIZZZNS0_12_GLOBAL__N_124renorm_scale_factor_implERNS_18TensorIteratorBaseEdENKUlvE_clEvENKUlvE0_clEvEUlfE_St5arrayIPcLm2EELi4E23TrivialOffsetCalculatorILi1EjESC_NS0_6memory15LoadWithoutCastENSD_16StoreWithoutCastEEEviT_T0_T2_T3_T4_T5_.num_vgpr, 14
	.set _ZN2at6native27unrolled_elementwise_kernelIZZZNS0_12_GLOBAL__N_124renorm_scale_factor_implERNS_18TensorIteratorBaseEdENKUlvE_clEvENKUlvE0_clEvEUlfE_St5arrayIPcLm2EELi4E23TrivialOffsetCalculatorILi1EjESC_NS0_6memory15LoadWithoutCastENSD_16StoreWithoutCastEEEviT_T0_T2_T3_T4_T5_.num_agpr, 0
	.set _ZN2at6native27unrolled_elementwise_kernelIZZZNS0_12_GLOBAL__N_124renorm_scale_factor_implERNS_18TensorIteratorBaseEdENKUlvE_clEvENKUlvE0_clEvEUlfE_St5arrayIPcLm2EELi4E23TrivialOffsetCalculatorILi1EjESC_NS0_6memory15LoadWithoutCastENSD_16StoreWithoutCastEEEviT_T0_T2_T3_T4_T5_.numbered_sgpr, 9
	.set _ZN2at6native27unrolled_elementwise_kernelIZZZNS0_12_GLOBAL__N_124renorm_scale_factor_implERNS_18TensorIteratorBaseEdENKUlvE_clEvENKUlvE0_clEvEUlfE_St5arrayIPcLm2EELi4E23TrivialOffsetCalculatorILi1EjESC_NS0_6memory15LoadWithoutCastENSD_16StoreWithoutCastEEEviT_T0_T2_T3_T4_T5_.num_named_barrier, 0
	.set _ZN2at6native27unrolled_elementwise_kernelIZZZNS0_12_GLOBAL__N_124renorm_scale_factor_implERNS_18TensorIteratorBaseEdENKUlvE_clEvENKUlvE0_clEvEUlfE_St5arrayIPcLm2EELi4E23TrivialOffsetCalculatorILi1EjESC_NS0_6memory15LoadWithoutCastENSD_16StoreWithoutCastEEEviT_T0_T2_T3_T4_T5_.private_seg_size, 0
	.set _ZN2at6native27unrolled_elementwise_kernelIZZZNS0_12_GLOBAL__N_124renorm_scale_factor_implERNS_18TensorIteratorBaseEdENKUlvE_clEvENKUlvE0_clEvEUlfE_St5arrayIPcLm2EELi4E23TrivialOffsetCalculatorILi1EjESC_NS0_6memory15LoadWithoutCastENSD_16StoreWithoutCastEEEviT_T0_T2_T3_T4_T5_.uses_vcc, 1
	.set _ZN2at6native27unrolled_elementwise_kernelIZZZNS0_12_GLOBAL__N_124renorm_scale_factor_implERNS_18TensorIteratorBaseEdENKUlvE_clEvENKUlvE0_clEvEUlfE_St5arrayIPcLm2EELi4E23TrivialOffsetCalculatorILi1EjESC_NS0_6memory15LoadWithoutCastENSD_16StoreWithoutCastEEEviT_T0_T2_T3_T4_T5_.uses_flat_scratch, 0
	.set _ZN2at6native27unrolled_elementwise_kernelIZZZNS0_12_GLOBAL__N_124renorm_scale_factor_implERNS_18TensorIteratorBaseEdENKUlvE_clEvENKUlvE0_clEvEUlfE_St5arrayIPcLm2EELi4E23TrivialOffsetCalculatorILi1EjESC_NS0_6memory15LoadWithoutCastENSD_16StoreWithoutCastEEEviT_T0_T2_T3_T4_T5_.has_dyn_sized_stack, 0
	.set _ZN2at6native27unrolled_elementwise_kernelIZZZNS0_12_GLOBAL__N_124renorm_scale_factor_implERNS_18TensorIteratorBaseEdENKUlvE_clEvENKUlvE0_clEvEUlfE_St5arrayIPcLm2EELi4E23TrivialOffsetCalculatorILi1EjESC_NS0_6memory15LoadWithoutCastENSD_16StoreWithoutCastEEEviT_T0_T2_T3_T4_T5_.has_recursion, 0
	.set _ZN2at6native27unrolled_elementwise_kernelIZZZNS0_12_GLOBAL__N_124renorm_scale_factor_implERNS_18TensorIteratorBaseEdENKUlvE_clEvENKUlvE0_clEvEUlfE_St5arrayIPcLm2EELi4E23TrivialOffsetCalculatorILi1EjESC_NS0_6memory15LoadWithoutCastENSD_16StoreWithoutCastEEEviT_T0_T2_T3_T4_T5_.has_indirect_call, 0
	.section	.AMDGPU.csdata,"",@progbits
; Kernel info:
; codeLenInByte = 1240
; TotalNumSgprs: 11
; NumVgprs: 14
; ScratchSize: 0
; MemoryBound: 0
; FloatMode: 240
; IeeeMode: 1
; LDSByteSize: 0 bytes/workgroup (compile time only)
; SGPRBlocks: 0
; VGPRBlocks: 0
; NumSGPRsForWavesPerEU: 11
; NumVGPRsForWavesPerEU: 14
; NamedBarCnt: 0
; Occupancy: 16
; WaveLimiterHint : 0
; COMPUTE_PGM_RSRC2:SCRATCH_EN: 0
; COMPUTE_PGM_RSRC2:USER_SGPR: 2
; COMPUTE_PGM_RSRC2:TRAP_HANDLER: 0
; COMPUTE_PGM_RSRC2:TGID_X_EN: 1
; COMPUTE_PGM_RSRC2:TGID_Y_EN: 0
; COMPUTE_PGM_RSRC2:TGID_Z_EN: 0
; COMPUTE_PGM_RSRC2:TIDIG_COMP_CNT: 0
	.section	.text._ZN2at6native32elementwise_kernel_manual_unrollILi128ELi4EZNS0_22gpu_kernel_impl_nocastIZZZNS0_12_GLOBAL__N_124renorm_scale_factor_implERNS_18TensorIteratorBaseEdENKUlvE_clEvENKUlvE0_clEvEUlfE_EEvS5_RKT_EUlibE_EEviT1_,"axG",@progbits,_ZN2at6native32elementwise_kernel_manual_unrollILi128ELi4EZNS0_22gpu_kernel_impl_nocastIZZZNS0_12_GLOBAL__N_124renorm_scale_factor_implERNS_18TensorIteratorBaseEdENKUlvE_clEvENKUlvE0_clEvEUlfE_EEvS5_RKT_EUlibE_EEviT1_,comdat
	.globl	_ZN2at6native32elementwise_kernel_manual_unrollILi128ELi4EZNS0_22gpu_kernel_impl_nocastIZZZNS0_12_GLOBAL__N_124renorm_scale_factor_implERNS_18TensorIteratorBaseEdENKUlvE_clEvENKUlvE0_clEvEUlfE_EEvS5_RKT_EUlibE_EEviT1_ ; -- Begin function _ZN2at6native32elementwise_kernel_manual_unrollILi128ELi4EZNS0_22gpu_kernel_impl_nocastIZZZNS0_12_GLOBAL__N_124renorm_scale_factor_implERNS_18TensorIteratorBaseEdENKUlvE_clEvENKUlvE0_clEvEUlfE_EEvS5_RKT_EUlibE_EEviT1_
	.p2align	8
	.type	_ZN2at6native32elementwise_kernel_manual_unrollILi128ELi4EZNS0_22gpu_kernel_impl_nocastIZZZNS0_12_GLOBAL__N_124renorm_scale_factor_implERNS_18TensorIteratorBaseEdENKUlvE_clEvENKUlvE0_clEvEUlfE_EEvS5_RKT_EUlibE_EEviT1_,@function
_ZN2at6native32elementwise_kernel_manual_unrollILi128ELi4EZNS0_22gpu_kernel_impl_nocastIZZZNS0_12_GLOBAL__N_124renorm_scale_factor_implERNS_18TensorIteratorBaseEdENKUlvE_clEvENKUlvE0_clEvEUlfE_EEvS5_RKT_EUlibE_EEviT1_: ; @_ZN2at6native32elementwise_kernel_manual_unrollILi128ELi4EZNS0_22gpu_kernel_impl_nocastIZZZNS0_12_GLOBAL__N_124renorm_scale_factor_implERNS_18TensorIteratorBaseEdENKUlvE_clEvENKUlvE0_clEvEUlfE_EEvS5_RKT_EUlibE_EEviT1_
; %bb.0:
	s_clause 0x1
	s_load_b32 s28, s[0:1], 0x8
	s_load_b32 s35, s[0:1], 0x0
	s_bfe_u32 s2, ttmp6, 0x4000c
	s_and_b32 s3, ttmp6, 15
	s_add_co_i32 s2, s2, 1
	s_getreg_b32 s4, hwreg(HW_REG_IB_STS2, 6, 4)
	s_mul_i32 s2, ttmp9, s2
	s_add_nc_u64 s[12:13], s[0:1], 8
	s_add_co_i32 s3, s3, s2
	s_cmp_eq_u32 s4, 0
	s_mov_b32 s17, 0
	s_cselect_b32 s2, ttmp9, s3
	s_wait_xcnt 0x0
	s_mov_b32 s0, exec_lo
	v_lshl_or_b32 v0, s2, 9, v0
	s_delay_alu instid0(VALU_DEP_1) | instskip(SKIP_2) | instid1(SALU_CYCLE_1)
	v_or_b32_e32 v8, 0x180, v0
	s_wait_kmcnt 0x0
	s_add_co_i32 s29, s28, -1
	s_cmp_gt_u32 s29, 1
	s_cselect_b32 s30, -1, 0
	v_cmpx_le_i32_e64 s35, v8
	s_xor_b32 s31, exec_lo, s0
	s_cbranch_execz .LBB13_7
; %bb.1:
	s_clause 0x4
	s_load_b128 s[4:7], s[12:13], 0x4
	s_load_b64 s[14:15], s[12:13], 0x14
	s_load_b128 s[8:11], s[12:13], 0xc4
	s_load_b128 s[0:3], s[12:13], 0x148
	s_load_b32 s33, s[12:13], 0x158
	s_cmp_lg_u32 s28, 0
	s_add_nc_u64 s[20:21], s[12:13], 0xc4
	s_cselect_b32 s37, -1, 0
	s_min_u32 s36, s29, 15
	s_cmp_gt_u32 s28, 1
	s_mov_b32 s19, s17
	s_cselect_b32 s34, -1, 0
	s_wait_kmcnt 0x0
	s_mov_b32 s16, s5
	s_mov_b32 s18, s14
	s_mov_b32 s5, exec_lo
	v_cmpx_gt_i32_e64 s35, v0
	s_cbranch_execz .LBB13_14
; %bb.2:
	s_and_not1_b32 vcc_lo, exec_lo, s30
	s_cbranch_vccnz .LBB13_21
; %bb.3:
	s_and_not1_b32 vcc_lo, exec_lo, s37
	s_cbranch_vccnz .LBB13_81
; %bb.4:
	s_add_co_i32 s14, s36, 1
	s_cmp_eq_u32 s29, 2
	s_cbranch_scc1 .LBB13_83
; %bb.5:
	v_dual_mov_b32 v2, 0 :: v_dual_mov_b32 v3, 0
	v_mov_b32_e32 v1, v0
	s_and_b32 s22, s14, 28
	s_mov_b32 s23, 0
	s_mov_b64 s[24:25], s[12:13]
	s_mov_b64 s[26:27], s[20:21]
.LBB13_6:                               ; =>This Inner Loop Header: Depth=1
	s_clause 0x1
	s_load_b256 s[40:47], s[24:25], 0x4
	s_load_b128 s[56:59], s[24:25], 0x24
	s_load_b256 s[48:55], s[26:27], 0x0
	s_add_co_i32 s23, s23, 4
	s_wait_xcnt 0x0
	s_add_nc_u64 s[24:25], s[24:25], 48
	s_cmp_lg_u32 s22, s23
	s_add_nc_u64 s[26:27], s[26:27], 32
	s_wait_kmcnt 0x0
	v_mul_hi_u32 v4, s41, v1
	s_delay_alu instid0(VALU_DEP_1) | instskip(NEXT) | instid1(VALU_DEP_1)
	v_add_nc_u32_e32 v4, v1, v4
	v_lshrrev_b32_e32 v4, s42, v4
	s_delay_alu instid0(VALU_DEP_1) | instskip(NEXT) | instid1(VALU_DEP_1)
	v_mul_hi_u32 v5, s44, v4
	v_add_nc_u32_e32 v5, v4, v5
	s_delay_alu instid0(VALU_DEP_1) | instskip(NEXT) | instid1(VALU_DEP_1)
	v_lshrrev_b32_e32 v5, s45, v5
	v_mul_hi_u32 v6, s47, v5
	s_delay_alu instid0(VALU_DEP_1) | instskip(SKIP_1) | instid1(VALU_DEP_1)
	v_add_nc_u32_e32 v6, v5, v6
	v_mul_lo_u32 v7, v4, s40
	v_sub_nc_u32_e32 v1, v1, v7
	v_mul_lo_u32 v7, v5, s43
	s_delay_alu instid0(VALU_DEP_4) | instskip(NEXT) | instid1(VALU_DEP_3)
	v_lshrrev_b32_e32 v6, s56, v6
	v_mad_u32 v3, v1, s49, v3
	v_mad_u32 v1, v1, s48, v2
	s_delay_alu instid0(VALU_DEP_4) | instskip(NEXT) | instid1(VALU_DEP_4)
	v_sub_nc_u32_e32 v2, v4, v7
	v_mul_hi_u32 v8, s58, v6
	v_mul_lo_u32 v4, v6, s46
	s_delay_alu instid0(VALU_DEP_3) | instskip(SKIP_1) | instid1(VALU_DEP_4)
	v_mad_u32 v3, v2, s51, v3
	v_mad_u32 v2, v2, s50, v1
	v_add_nc_u32_e32 v7, v6, v8
	s_delay_alu instid0(VALU_DEP_1) | instskip(NEXT) | instid1(VALU_DEP_1)
	v_dual_sub_nc_u32 v4, v5, v4 :: v_dual_lshrrev_b32 v1, s59, v7
	v_mad_u32 v3, v4, s53, v3
	s_delay_alu instid0(VALU_DEP_4) | instskip(NEXT) | instid1(VALU_DEP_3)
	v_mad_u32 v2, v4, s52, v2
	v_mul_lo_u32 v5, v1, s57
	s_delay_alu instid0(VALU_DEP_1) | instskip(NEXT) | instid1(VALU_DEP_1)
	v_sub_nc_u32_e32 v4, v6, v5
	v_mad_u32 v3, v4, s55, v3
	s_delay_alu instid0(VALU_DEP_4)
	v_mad_u32 v2, v4, s54, v2
	s_cbranch_scc1 .LBB13_6
	s_branch .LBB13_84
.LBB13_7:
	s_and_not1_saveexec_b32 s0, s31
	s_cbranch_execz .LBB13_113
.LBB13_8:
	v_cndmask_b32_e64 v6, 0, 1, s30
	s_and_not1_b32 vcc_lo, exec_lo, s30
	s_cbranch_vccnz .LBB13_20
; %bb.9:
	s_cmp_lg_u32 s28, 0
	s_mov_b32 s6, 0
	s_cbranch_scc0 .LBB13_23
; %bb.10:
	s_min_u32 s1, s29, 15
	s_delay_alu instid0(SALU_CYCLE_1)
	s_add_co_i32 s1, s1, 1
	s_cmp_eq_u32 s29, 2
	s_cbranch_scc1 .LBB13_24
; %bb.11:
	v_dual_mov_b32 v2, 0 :: v_dual_mov_b32 v3, 0
	v_mov_b32_e32 v1, v0
	s_and_b32 s0, s1, 28
	s_add_nc_u64 s[2:3], s[12:13], 0xc4
	s_mov_b32 s7, 0
	s_mov_b64 s[4:5], s[12:13]
.LBB13_12:                              ; =>This Inner Loop Header: Depth=1
	s_clause 0x1
	s_load_b256 s[16:23], s[4:5], 0x4
	s_load_b128 s[8:11], s[4:5], 0x24
	s_load_b256 s[36:43], s[2:3], 0x0
	s_add_co_i32 s7, s7, 4
	s_wait_xcnt 0x0
	s_add_nc_u64 s[4:5], s[4:5], 48
	s_cmp_lg_u32 s0, s7
	s_add_nc_u64 s[2:3], s[2:3], 32
	s_wait_kmcnt 0x0
	v_mul_hi_u32 v4, s17, v1
	s_delay_alu instid0(VALU_DEP_1) | instskip(NEXT) | instid1(VALU_DEP_1)
	v_add_nc_u32_e32 v4, v1, v4
	v_lshrrev_b32_e32 v4, s18, v4
	s_delay_alu instid0(VALU_DEP_1) | instskip(NEXT) | instid1(VALU_DEP_1)
	v_mul_hi_u32 v5, s20, v4
	v_add_nc_u32_e32 v5, v4, v5
	s_delay_alu instid0(VALU_DEP_1) | instskip(NEXT) | instid1(VALU_DEP_1)
	v_lshrrev_b32_e32 v5, s21, v5
	v_mul_hi_u32 v7, s23, v5
	s_delay_alu instid0(VALU_DEP_1) | instskip(SKIP_1) | instid1(VALU_DEP_2)
	v_add_nc_u32_e32 v7, v5, v7
	v_mul_lo_u32 v9, v4, s16
	v_lshrrev_b32_e32 v7, s8, v7
	s_delay_alu instid0(VALU_DEP_1) | instskip(NEXT) | instid1(VALU_DEP_3)
	v_mul_hi_u32 v10, s10, v7
	v_sub_nc_u32_e32 v1, v1, v9
	v_mul_lo_u32 v9, v5, s19
	s_delay_alu instid0(VALU_DEP_2) | instskip(SKIP_1) | instid1(VALU_DEP_3)
	v_mad_u32 v3, v1, s37, v3
	v_mad_u32 v1, v1, s36, v2
	v_sub_nc_u32_e32 v2, v4, v9
	v_mul_lo_u32 v4, v7, s22
	v_add_nc_u32_e32 v9, v7, v10
	s_delay_alu instid0(VALU_DEP_3) | instskip(SKIP_1) | instid1(VALU_DEP_3)
	v_mad_u32 v3, v2, s39, v3
	v_mad_u32 v2, v2, s38, v1
	v_dual_sub_nc_u32 v4, v5, v4 :: v_dual_lshrrev_b32 v1, s11, v9
	s_delay_alu instid0(VALU_DEP_1) | instskip(NEXT) | instid1(VALU_DEP_2)
	v_mad_u32 v3, v4, s41, v3
	v_mul_lo_u32 v5, v1, s9
	s_delay_alu instid0(VALU_DEP_4) | instskip(NEXT) | instid1(VALU_DEP_2)
	v_mad_u32 v2, v4, s40, v2
	v_sub_nc_u32_e32 v4, v7, v5
	s_delay_alu instid0(VALU_DEP_1) | instskip(NEXT) | instid1(VALU_DEP_3)
	v_mad_u32 v3, v4, s43, v3
	v_mad_u32 v2, v4, s42, v2
	s_cbranch_scc1 .LBB13_12
; %bb.13:
	s_and_b32 s4, s1, 3
	s_mov_b32 s1, 0
	s_cmp_eq_u32 s4, 0
	s_cbranch_scc0 .LBB13_25
	s_branch .LBB13_27
.LBB13_14:
	s_or_b32 exec_lo, exec_lo, s5
	s_delay_alu instid0(SALU_CYCLE_1)
	s_mov_b32 s5, exec_lo
	v_cmpx_gt_i32_e64 s35, v0
	s_cbranch_execz .LBB13_93
.LBB13_15:
	s_and_not1_b32 vcc_lo, exec_lo, s30
	s_cbranch_vccnz .LBB13_22
; %bb.16:
	s_and_not1_b32 vcc_lo, exec_lo, s37
	s_cbranch_vccnz .LBB13_82
; %bb.17:
	s_add_co_i32 s14, s36, 1
	s_cmp_eq_u32 s29, 2
	s_cbranch_scc1 .LBB13_101
; %bb.18:
	v_dual_mov_b32 v2, 0 :: v_dual_mov_b32 v3, 0
	v_mov_b32_e32 v1, v0
	s_and_b32 s22, s14, 28
	s_mov_b32 s23, 0
	s_mov_b64 s[24:25], s[12:13]
	s_mov_b64 s[26:27], s[20:21]
.LBB13_19:                              ; =>This Inner Loop Header: Depth=1
	s_clause 0x1
	s_load_b256 s[40:47], s[24:25], 0x4
	s_load_b128 s[56:59], s[24:25], 0x24
	s_load_b256 s[48:55], s[26:27], 0x0
	s_add_co_i32 s23, s23, 4
	s_wait_xcnt 0x0
	s_add_nc_u64 s[24:25], s[24:25], 48
	s_cmp_eq_u32 s22, s23
	s_add_nc_u64 s[26:27], s[26:27], 32
	s_wait_kmcnt 0x0
	v_mul_hi_u32 v4, s41, v1
	s_delay_alu instid0(VALU_DEP_1) | instskip(NEXT) | instid1(VALU_DEP_1)
	v_add_nc_u32_e32 v4, v1, v4
	v_lshrrev_b32_e32 v4, s42, v4
	s_delay_alu instid0(VALU_DEP_1) | instskip(NEXT) | instid1(VALU_DEP_1)
	v_mul_hi_u32 v5, s44, v4
	v_add_nc_u32_e32 v5, v4, v5
	s_delay_alu instid0(VALU_DEP_1) | instskip(NEXT) | instid1(VALU_DEP_1)
	v_lshrrev_b32_e32 v5, s45, v5
	v_mul_hi_u32 v6, s47, v5
	s_delay_alu instid0(VALU_DEP_1) | instskip(SKIP_1) | instid1(VALU_DEP_1)
	v_add_nc_u32_e32 v6, v5, v6
	v_mul_lo_u32 v7, v4, s40
	v_sub_nc_u32_e32 v1, v1, v7
	v_mul_lo_u32 v7, v5, s43
	s_delay_alu instid0(VALU_DEP_4) | instskip(NEXT) | instid1(VALU_DEP_3)
	v_lshrrev_b32_e32 v6, s56, v6
	v_mad_u32 v3, v1, s49, v3
	v_mad_u32 v1, v1, s48, v2
	s_delay_alu instid0(VALU_DEP_4) | instskip(NEXT) | instid1(VALU_DEP_4)
	v_sub_nc_u32_e32 v2, v4, v7
	v_mul_hi_u32 v8, s58, v6
	v_mul_lo_u32 v4, v6, s46
	s_delay_alu instid0(VALU_DEP_3) | instskip(SKIP_1) | instid1(VALU_DEP_4)
	v_mad_u32 v3, v2, s51, v3
	v_mad_u32 v2, v2, s50, v1
	v_add_nc_u32_e32 v7, v6, v8
	s_delay_alu instid0(VALU_DEP_1) | instskip(NEXT) | instid1(VALU_DEP_1)
	v_dual_sub_nc_u32 v4, v5, v4 :: v_dual_lshrrev_b32 v1, s59, v7
	v_mad_u32 v3, v4, s53, v3
	s_delay_alu instid0(VALU_DEP_4) | instskip(NEXT) | instid1(VALU_DEP_3)
	v_mad_u32 v2, v4, s52, v2
	v_mul_lo_u32 v5, v1, s57
	s_delay_alu instid0(VALU_DEP_1) | instskip(NEXT) | instid1(VALU_DEP_1)
	v_sub_nc_u32_e32 v4, v6, v5
	v_mad_u32 v3, v4, s55, v3
	s_delay_alu instid0(VALU_DEP_4)
	v_mad_u32 v2, v4, s54, v2
	s_cbranch_scc0 .LBB13_19
	s_branch .LBB13_102
.LBB13_20:
	s_mov_b32 s6, -1
                                        ; implicit-def: $vgpr3
	s_branch .LBB13_27
.LBB13_21:
                                        ; implicit-def: $vgpr3
	s_branch .LBB13_88
.LBB13_22:
                                        ; implicit-def: $vgpr3
	s_branch .LBB13_106
.LBB13_23:
	v_dual_mov_b32 v3, 0 :: v_dual_mov_b32 v2, 0
	s_branch .LBB13_27
.LBB13_24:
	v_mov_b64_e32 v[2:3], 0
	v_mov_b32_e32 v1, v0
	s_mov_b32 s0, 0
	s_and_b32 s4, s1, 3
	s_mov_b32 s1, 0
	s_cmp_eq_u32 s4, 0
	s_cbranch_scc1 .LBB13_27
.LBB13_25:
	s_lshl_b32 s2, s0, 3
	s_mov_b32 s3, s1
	s_mul_u64 s[8:9], s[0:1], 12
	s_add_nc_u64 s[2:3], s[12:13], s[2:3]
	s_delay_alu instid0(SALU_CYCLE_1)
	s_add_nc_u64 s[0:1], s[2:3], 0xc4
	s_add_nc_u64 s[2:3], s[12:13], s[8:9]
.LBB13_26:                              ; =>This Inner Loop Header: Depth=1
	s_load_b96 s[8:10], s[2:3], 0x4
	s_add_co_i32 s4, s4, -1
	s_wait_xcnt 0x0
	s_add_nc_u64 s[2:3], s[2:3], 12
	s_cmp_lg_u32 s4, 0
	s_wait_kmcnt 0x0
	v_mul_hi_u32 v4, s9, v1
	s_delay_alu instid0(VALU_DEP_1) | instskip(NEXT) | instid1(VALU_DEP_1)
	v_add_nc_u32_e32 v4, v1, v4
	v_lshrrev_b32_e32 v4, s10, v4
	s_load_b64 s[10:11], s[0:1], 0x0
	s_wait_xcnt 0x0
	s_add_nc_u64 s[0:1], s[0:1], 8
	s_delay_alu instid0(VALU_DEP_1) | instskip(NEXT) | instid1(VALU_DEP_1)
	v_mul_lo_u32 v5, v4, s8
	v_sub_nc_u32_e32 v1, v1, v5
	s_wait_kmcnt 0x0
	s_delay_alu instid0(VALU_DEP_1)
	v_mad_u32 v3, v1, s11, v3
	v_mad_u32 v2, v1, s10, v2
	v_mov_b32_e32 v1, v4
	s_cbranch_scc1 .LBB13_26
.LBB13_27:
	s_and_not1_b32 vcc_lo, exec_lo, s6
	s_cbranch_vccnz .LBB13_30
; %bb.28:
	s_clause 0x1
	s_load_b96 s[0:2], s[12:13], 0x4
	s_load_b64 s[4:5], s[12:13], 0xc4
	s_cmp_lt_u32 s28, 2
	s_wait_kmcnt 0x0
	v_mul_hi_u32 v1, s1, v0
	s_delay_alu instid0(VALU_DEP_1) | instskip(NEXT) | instid1(VALU_DEP_1)
	v_add_nc_u32_e32 v1, v0, v1
	v_lshrrev_b32_e32 v1, s2, v1
	s_delay_alu instid0(VALU_DEP_1) | instskip(NEXT) | instid1(VALU_DEP_1)
	v_mul_lo_u32 v2, v1, s0
	v_sub_nc_u32_e32 v2, v0, v2
	s_delay_alu instid0(VALU_DEP_1)
	v_mul_lo_u32 v3, v2, s5
	v_mul_lo_u32 v2, v2, s4
	s_cbranch_scc1 .LBB13_30
; %bb.29:
	s_clause 0x1
	s_load_b96 s[0:2], s[12:13], 0x10
	s_load_b64 s[4:5], s[12:13], 0xcc
	s_wait_kmcnt 0x0
	v_mul_hi_u32 v4, s1, v1
	s_delay_alu instid0(VALU_DEP_1) | instskip(NEXT) | instid1(VALU_DEP_1)
	v_add_nc_u32_e32 v4, v1, v4
	v_lshrrev_b32_e32 v4, s2, v4
	s_delay_alu instid0(VALU_DEP_1) | instskip(NEXT) | instid1(VALU_DEP_1)
	v_mul_lo_u32 v4, v4, s0
	v_sub_nc_u32_e32 v1, v1, v4
	s_delay_alu instid0(VALU_DEP_1)
	v_mad_u32 v2, v1, s4, v2
	v_mad_u32 v3, v1, s5, v3
.LBB13_30:
	v_cmp_ne_u32_e32 vcc_lo, 1, v6
	v_add_nc_u32_e32 v1, 0x80, v0
	s_cbranch_vccnz .LBB13_36
; %bb.31:
	s_cmp_lg_u32 s28, 0
	s_mov_b32 s6, 0
	s_cbranch_scc0 .LBB13_37
; %bb.32:
	s_min_u32 s1, s29, 15
	s_delay_alu instid0(SALU_CYCLE_1)
	s_add_co_i32 s1, s1, 1
	s_cmp_eq_u32 s29, 2
	s_cbranch_scc1 .LBB13_38
; %bb.33:
	v_dual_mov_b32 v4, 0 :: v_dual_mov_b32 v5, 0
	v_mov_b32_e32 v7, v1
	s_and_b32 s0, s1, 28
	s_add_nc_u64 s[2:3], s[12:13], 0xc4
	s_mov_b32 s7, 0
	s_mov_b64 s[4:5], s[12:13]
.LBB13_34:                              ; =>This Inner Loop Header: Depth=1
	s_clause 0x1
	s_load_b256 s[16:23], s[4:5], 0x4
	s_load_b128 s[8:11], s[4:5], 0x24
	s_load_b256 s[36:43], s[2:3], 0x0
	s_add_co_i32 s7, s7, 4
	s_wait_xcnt 0x0
	s_add_nc_u64 s[4:5], s[4:5], 48
	s_cmp_lg_u32 s0, s7
	s_add_nc_u64 s[2:3], s[2:3], 32
	s_wait_kmcnt 0x0
	v_mul_hi_u32 v9, s17, v7
	s_delay_alu instid0(VALU_DEP_1) | instskip(NEXT) | instid1(VALU_DEP_1)
	v_add_nc_u32_e32 v9, v7, v9
	v_lshrrev_b32_e32 v9, s18, v9
	s_delay_alu instid0(VALU_DEP_1) | instskip(NEXT) | instid1(VALU_DEP_1)
	v_mul_hi_u32 v10, s20, v9
	v_add_nc_u32_e32 v10, v9, v10
	s_delay_alu instid0(VALU_DEP_1) | instskip(NEXT) | instid1(VALU_DEP_1)
	v_lshrrev_b32_e32 v10, s21, v10
	v_mul_hi_u32 v11, s23, v10
	s_delay_alu instid0(VALU_DEP_1) | instskip(SKIP_1) | instid1(VALU_DEP_1)
	v_add_nc_u32_e32 v11, v10, v11
	v_mul_lo_u32 v12, v9, s16
	v_sub_nc_u32_e32 v7, v7, v12
	v_mul_lo_u32 v12, v10, s19
	s_delay_alu instid0(VALU_DEP_4) | instskip(NEXT) | instid1(VALU_DEP_3)
	v_lshrrev_b32_e32 v11, s8, v11
	v_mad_u32 v5, v7, s37, v5
	v_mad_u32 v4, v7, s36, v4
	s_delay_alu instid0(VALU_DEP_4) | instskip(NEXT) | instid1(VALU_DEP_4)
	v_sub_nc_u32_e32 v7, v9, v12
	v_mul_hi_u32 v13, s10, v11
	v_mul_lo_u32 v9, v11, s22
	s_delay_alu instid0(VALU_DEP_3) | instskip(SKIP_1) | instid1(VALU_DEP_4)
	v_mad_u32 v5, v7, s39, v5
	v_mad_u32 v4, v7, s38, v4
	v_add_nc_u32_e32 v12, v11, v13
	s_delay_alu instid0(VALU_DEP_1) | instskip(NEXT) | instid1(VALU_DEP_1)
	v_dual_sub_nc_u32 v9, v10, v9 :: v_dual_lshrrev_b32 v7, s11, v12
	v_mad_u32 v5, v9, s41, v5
	s_delay_alu instid0(VALU_DEP_4) | instskip(NEXT) | instid1(VALU_DEP_3)
	v_mad_u32 v4, v9, s40, v4
	v_mul_lo_u32 v10, v7, s9
	s_delay_alu instid0(VALU_DEP_1) | instskip(NEXT) | instid1(VALU_DEP_1)
	v_sub_nc_u32_e32 v9, v11, v10
	v_mad_u32 v5, v9, s43, v5
	s_delay_alu instid0(VALU_DEP_4)
	v_mad_u32 v4, v9, s42, v4
	s_cbranch_scc1 .LBB13_34
; %bb.35:
	s_and_b32 s4, s1, 3
	s_mov_b32 s1, 0
	s_cmp_eq_u32 s4, 0
	s_cbranch_scc0 .LBB13_39
	s_branch .LBB13_41
.LBB13_36:
	s_mov_b32 s6, -1
                                        ; implicit-def: $vgpr5
	s_branch .LBB13_41
.LBB13_37:
	v_dual_mov_b32 v5, 0 :: v_dual_mov_b32 v4, 0
	s_branch .LBB13_41
.LBB13_38:
	v_mov_b64_e32 v[4:5], 0
	v_mov_b32_e32 v7, v1
	s_mov_b32 s0, 0
	s_and_b32 s4, s1, 3
	s_mov_b32 s1, 0
	s_cmp_eq_u32 s4, 0
	s_cbranch_scc1 .LBB13_41
.LBB13_39:
	s_lshl_b32 s2, s0, 3
	s_mov_b32 s3, s1
	s_mul_u64 s[8:9], s[0:1], 12
	s_add_nc_u64 s[2:3], s[12:13], s[2:3]
	s_delay_alu instid0(SALU_CYCLE_1)
	s_add_nc_u64 s[0:1], s[2:3], 0xc4
	s_add_nc_u64 s[2:3], s[12:13], s[8:9]
.LBB13_40:                              ; =>This Inner Loop Header: Depth=1
	s_load_b96 s[8:10], s[2:3], 0x4
	s_add_co_i32 s4, s4, -1
	s_wait_xcnt 0x0
	s_add_nc_u64 s[2:3], s[2:3], 12
	s_cmp_lg_u32 s4, 0
	s_wait_kmcnt 0x0
	v_mul_hi_u32 v9, s9, v7
	s_delay_alu instid0(VALU_DEP_1) | instskip(NEXT) | instid1(VALU_DEP_1)
	v_add_nc_u32_e32 v9, v7, v9
	v_lshrrev_b32_e32 v9, s10, v9
	s_load_b64 s[10:11], s[0:1], 0x0
	s_wait_xcnt 0x0
	s_add_nc_u64 s[0:1], s[0:1], 8
	s_delay_alu instid0(VALU_DEP_1) | instskip(NEXT) | instid1(VALU_DEP_1)
	v_mul_lo_u32 v10, v9, s8
	v_sub_nc_u32_e32 v7, v7, v10
	s_wait_kmcnt 0x0
	s_delay_alu instid0(VALU_DEP_1)
	v_mad_u32 v5, v7, s11, v5
	v_mad_u32 v4, v7, s10, v4
	v_mov_b32_e32 v7, v9
	s_cbranch_scc1 .LBB13_40
.LBB13_41:
	s_and_not1_b32 vcc_lo, exec_lo, s6
	s_cbranch_vccnz .LBB13_44
; %bb.42:
	s_clause 0x1
	s_load_b96 s[0:2], s[12:13], 0x4
	s_load_b64 s[4:5], s[12:13], 0xc4
	s_cmp_lt_u32 s28, 2
	s_wait_kmcnt 0x0
	v_mul_hi_u32 v4, s1, v1
	s_delay_alu instid0(VALU_DEP_1) | instskip(NEXT) | instid1(VALU_DEP_1)
	v_add_nc_u32_e32 v4, v1, v4
	v_lshrrev_b32_e32 v7, s2, v4
	s_delay_alu instid0(VALU_DEP_1) | instskip(NEXT) | instid1(VALU_DEP_1)
	v_mul_lo_u32 v4, v7, s0
	v_sub_nc_u32_e32 v1, v1, v4
	s_delay_alu instid0(VALU_DEP_1)
	v_mul_lo_u32 v5, v1, s5
	v_mul_lo_u32 v4, v1, s4
	s_cbranch_scc1 .LBB13_44
; %bb.43:
	s_clause 0x1
	s_load_b96 s[0:2], s[12:13], 0x10
	s_load_b64 s[4:5], s[12:13], 0xcc
	s_wait_kmcnt 0x0
	v_mul_hi_u32 v1, s1, v7
	s_delay_alu instid0(VALU_DEP_1) | instskip(NEXT) | instid1(VALU_DEP_1)
	v_add_nc_u32_e32 v1, v7, v1
	v_lshrrev_b32_e32 v1, s2, v1
	s_delay_alu instid0(VALU_DEP_1) | instskip(NEXT) | instid1(VALU_DEP_1)
	v_mul_lo_u32 v1, v1, s0
	v_sub_nc_u32_e32 v1, v7, v1
	s_delay_alu instid0(VALU_DEP_1)
	v_mad_u32 v4, v1, s4, v4
	v_mad_u32 v5, v1, s5, v5
.LBB13_44:
	v_cmp_ne_u32_e32 vcc_lo, 1, v6
	v_add_nc_u32_e32 v7, 0x100, v0
	s_cbranch_vccnz .LBB13_50
; %bb.45:
	s_cmp_lg_u32 s28, 0
	s_mov_b32 s6, 0
	s_cbranch_scc0 .LBB13_51
; %bb.46:
	s_min_u32 s1, s29, 15
	s_delay_alu instid0(SALU_CYCLE_1)
	s_add_co_i32 s1, s1, 1
	s_cmp_eq_u32 s29, 2
	s_cbranch_scc1 .LBB13_52
; %bb.47:
	v_dual_mov_b32 v0, 0 :: v_dual_mov_b32 v1, 0
	v_mov_b32_e32 v9, v7
	s_and_b32 s0, s1, 28
	s_add_nc_u64 s[2:3], s[12:13], 0xc4
	s_mov_b32 s7, 0
	s_mov_b64 s[4:5], s[12:13]
.LBB13_48:                              ; =>This Inner Loop Header: Depth=1
	s_clause 0x1
	s_load_b256 s[16:23], s[4:5], 0x4
	s_load_b128 s[8:11], s[4:5], 0x24
	s_load_b256 s[36:43], s[2:3], 0x0
	s_add_co_i32 s7, s7, 4
	s_wait_xcnt 0x0
	s_add_nc_u64 s[4:5], s[4:5], 48
	s_cmp_lg_u32 s0, s7
	s_add_nc_u64 s[2:3], s[2:3], 32
	s_wait_kmcnt 0x0
	v_mul_hi_u32 v10, s17, v9
	s_delay_alu instid0(VALU_DEP_1) | instskip(NEXT) | instid1(VALU_DEP_1)
	v_add_nc_u32_e32 v10, v9, v10
	v_lshrrev_b32_e32 v10, s18, v10
	s_delay_alu instid0(VALU_DEP_1) | instskip(NEXT) | instid1(VALU_DEP_1)
	v_mul_hi_u32 v11, s20, v10
	v_add_nc_u32_e32 v11, v10, v11
	s_delay_alu instid0(VALU_DEP_1) | instskip(NEXT) | instid1(VALU_DEP_1)
	v_lshrrev_b32_e32 v11, s21, v11
	v_mul_hi_u32 v12, s23, v11
	s_delay_alu instid0(VALU_DEP_1) | instskip(SKIP_1) | instid1(VALU_DEP_1)
	v_add_nc_u32_e32 v12, v11, v12
	v_mul_lo_u32 v13, v10, s16
	v_sub_nc_u32_e32 v9, v9, v13
	v_mul_lo_u32 v13, v11, s19
	s_delay_alu instid0(VALU_DEP_4) | instskip(NEXT) | instid1(VALU_DEP_3)
	v_lshrrev_b32_e32 v12, s8, v12
	v_mad_u32 v1, v9, s37, v1
	v_mad_u32 v0, v9, s36, v0
	s_delay_alu instid0(VALU_DEP_4) | instskip(NEXT) | instid1(VALU_DEP_4)
	v_sub_nc_u32_e32 v9, v10, v13
	v_mul_hi_u32 v14, s10, v12
	v_mul_lo_u32 v10, v12, s22
	s_delay_alu instid0(VALU_DEP_3) | instskip(SKIP_1) | instid1(VALU_DEP_4)
	v_mad_u32 v1, v9, s39, v1
	v_mad_u32 v0, v9, s38, v0
	v_add_nc_u32_e32 v13, v12, v14
	s_delay_alu instid0(VALU_DEP_1) | instskip(NEXT) | instid1(VALU_DEP_1)
	v_dual_sub_nc_u32 v10, v11, v10 :: v_dual_lshrrev_b32 v9, s11, v13
	v_mad_u32 v1, v10, s41, v1
	s_delay_alu instid0(VALU_DEP_4) | instskip(NEXT) | instid1(VALU_DEP_3)
	v_mad_u32 v0, v10, s40, v0
	v_mul_lo_u32 v11, v9, s9
	s_delay_alu instid0(VALU_DEP_1) | instskip(NEXT) | instid1(VALU_DEP_1)
	v_sub_nc_u32_e32 v10, v12, v11
	v_mad_u32 v1, v10, s43, v1
	s_delay_alu instid0(VALU_DEP_4)
	v_mad_u32 v0, v10, s42, v0
	s_cbranch_scc1 .LBB13_48
; %bb.49:
	s_and_b32 s4, s1, 3
	s_mov_b32 s1, 0
	s_cmp_eq_u32 s4, 0
	s_cbranch_scc0 .LBB13_53
	s_branch .LBB13_55
.LBB13_50:
	s_mov_b32 s6, -1
                                        ; implicit-def: $vgpr1
	s_branch .LBB13_55
.LBB13_51:
	v_dual_mov_b32 v1, 0 :: v_dual_mov_b32 v0, 0
	s_branch .LBB13_55
.LBB13_52:
	v_mov_b64_e32 v[0:1], 0
	v_mov_b32_e32 v9, v7
	s_mov_b32 s0, 0
	s_and_b32 s4, s1, 3
	s_mov_b32 s1, 0
	s_cmp_eq_u32 s4, 0
	s_cbranch_scc1 .LBB13_55
.LBB13_53:
	s_lshl_b32 s2, s0, 3
	s_mov_b32 s3, s1
	s_mul_u64 s[8:9], s[0:1], 12
	s_add_nc_u64 s[2:3], s[12:13], s[2:3]
	s_delay_alu instid0(SALU_CYCLE_1)
	s_add_nc_u64 s[0:1], s[2:3], 0xc4
	s_add_nc_u64 s[2:3], s[12:13], s[8:9]
.LBB13_54:                              ; =>This Inner Loop Header: Depth=1
	s_load_b96 s[8:10], s[2:3], 0x4
	s_add_co_i32 s4, s4, -1
	s_wait_xcnt 0x0
	s_add_nc_u64 s[2:3], s[2:3], 12
	s_cmp_lg_u32 s4, 0
	s_wait_kmcnt 0x0
	v_mul_hi_u32 v10, s9, v9
	s_delay_alu instid0(VALU_DEP_1) | instskip(NEXT) | instid1(VALU_DEP_1)
	v_add_nc_u32_e32 v10, v9, v10
	v_lshrrev_b32_e32 v10, s10, v10
	s_load_b64 s[10:11], s[0:1], 0x0
	s_wait_xcnt 0x0
	s_add_nc_u64 s[0:1], s[0:1], 8
	s_delay_alu instid0(VALU_DEP_1) | instskip(NEXT) | instid1(VALU_DEP_1)
	v_mul_lo_u32 v11, v10, s8
	v_sub_nc_u32_e32 v9, v9, v11
	s_wait_kmcnt 0x0
	s_delay_alu instid0(VALU_DEP_1)
	v_mad_u32 v1, v9, s11, v1
	v_mad_u32 v0, v9, s10, v0
	v_mov_b32_e32 v9, v10
	s_cbranch_scc1 .LBB13_54
.LBB13_55:
	s_and_not1_b32 vcc_lo, exec_lo, s6
	s_cbranch_vccnz .LBB13_58
; %bb.56:
	s_clause 0x1
	s_load_b96 s[0:2], s[12:13], 0x4
	s_load_b64 s[4:5], s[12:13], 0xc4
	s_cmp_lt_u32 s28, 2
	s_wait_kmcnt 0x0
	v_mul_hi_u32 v0, s1, v7
	s_delay_alu instid0(VALU_DEP_1) | instskip(NEXT) | instid1(VALU_DEP_1)
	v_add_nc_u32_e32 v0, v7, v0
	v_lshrrev_b32_e32 v9, s2, v0
	s_delay_alu instid0(VALU_DEP_1) | instskip(NEXT) | instid1(VALU_DEP_1)
	v_mul_lo_u32 v0, v9, s0
	v_sub_nc_u32_e32 v0, v7, v0
	s_delay_alu instid0(VALU_DEP_1)
	v_mul_lo_u32 v1, v0, s5
	v_mul_lo_u32 v0, v0, s4
	s_cbranch_scc1 .LBB13_58
; %bb.57:
	s_clause 0x1
	s_load_b96 s[0:2], s[12:13], 0x10
	s_load_b64 s[4:5], s[12:13], 0xcc
	s_wait_kmcnt 0x0
	v_mul_hi_u32 v7, s1, v9
	s_delay_alu instid0(VALU_DEP_1) | instskip(NEXT) | instid1(VALU_DEP_1)
	v_add_nc_u32_e32 v7, v9, v7
	v_lshrrev_b32_e32 v7, s2, v7
	s_delay_alu instid0(VALU_DEP_1) | instskip(NEXT) | instid1(VALU_DEP_1)
	v_mul_lo_u32 v7, v7, s0
	v_sub_nc_u32_e32 v7, v9, v7
	s_delay_alu instid0(VALU_DEP_1)
	v_mad_u32 v0, v7, s4, v0
	v_mad_u32 v1, v7, s5, v1
.LBB13_58:
	v_cmp_ne_u32_e32 vcc_lo, 1, v6
	s_cbranch_vccnz .LBB13_64
; %bb.59:
	s_cmp_lg_u32 s28, 0
	s_mov_b32 s6, 0
	s_cbranch_scc0 .LBB13_65
; %bb.60:
	s_min_u32 s1, s29, 15
	s_delay_alu instid0(SALU_CYCLE_1)
	s_add_co_i32 s1, s1, 1
	s_cmp_eq_u32 s29, 2
	s_cbranch_scc1 .LBB13_66
; %bb.61:
	v_dual_mov_b32 v6, 0 :: v_dual_mov_b32 v7, 0
	v_mov_b32_e32 v9, v8
	s_and_b32 s0, s1, 28
	s_add_nc_u64 s[2:3], s[12:13], 0xc4
	s_mov_b32 s7, 0
	s_mov_b64 s[4:5], s[12:13]
.LBB13_62:                              ; =>This Inner Loop Header: Depth=1
	s_clause 0x1
	s_load_b256 s[16:23], s[4:5], 0x4
	s_load_b128 s[8:11], s[4:5], 0x24
	s_load_b256 s[36:43], s[2:3], 0x0
	s_add_co_i32 s7, s7, 4
	s_wait_xcnt 0x0
	s_add_nc_u64 s[4:5], s[4:5], 48
	s_cmp_lg_u32 s0, s7
	s_add_nc_u64 s[2:3], s[2:3], 32
	s_wait_kmcnt 0x0
	v_mul_hi_u32 v10, s17, v9
	s_delay_alu instid0(VALU_DEP_1) | instskip(NEXT) | instid1(VALU_DEP_1)
	v_add_nc_u32_e32 v10, v9, v10
	v_lshrrev_b32_e32 v10, s18, v10
	s_delay_alu instid0(VALU_DEP_1) | instskip(NEXT) | instid1(VALU_DEP_1)
	v_mul_hi_u32 v11, s20, v10
	v_add_nc_u32_e32 v11, v10, v11
	s_delay_alu instid0(VALU_DEP_1) | instskip(NEXT) | instid1(VALU_DEP_1)
	v_lshrrev_b32_e32 v11, s21, v11
	v_mul_hi_u32 v12, s23, v11
	s_delay_alu instid0(VALU_DEP_1) | instskip(SKIP_1) | instid1(VALU_DEP_1)
	v_add_nc_u32_e32 v12, v11, v12
	v_mul_lo_u32 v13, v10, s16
	v_sub_nc_u32_e32 v9, v9, v13
	v_mul_lo_u32 v13, v11, s19
	s_delay_alu instid0(VALU_DEP_4) | instskip(NEXT) | instid1(VALU_DEP_3)
	v_lshrrev_b32_e32 v12, s8, v12
	v_mad_u32 v7, v9, s37, v7
	v_mad_u32 v6, v9, s36, v6
	s_delay_alu instid0(VALU_DEP_4) | instskip(NEXT) | instid1(VALU_DEP_4)
	v_sub_nc_u32_e32 v9, v10, v13
	v_mul_hi_u32 v14, s10, v12
	v_mul_lo_u32 v10, v12, s22
	s_delay_alu instid0(VALU_DEP_3) | instskip(SKIP_1) | instid1(VALU_DEP_4)
	v_mad_u32 v7, v9, s39, v7
	v_mad_u32 v6, v9, s38, v6
	v_add_nc_u32_e32 v13, v12, v14
	s_delay_alu instid0(VALU_DEP_1) | instskip(NEXT) | instid1(VALU_DEP_1)
	v_dual_sub_nc_u32 v10, v11, v10 :: v_dual_lshrrev_b32 v9, s11, v13
	v_mad_u32 v7, v10, s41, v7
	s_delay_alu instid0(VALU_DEP_4) | instskip(NEXT) | instid1(VALU_DEP_3)
	v_mad_u32 v6, v10, s40, v6
	v_mul_lo_u32 v11, v9, s9
	s_delay_alu instid0(VALU_DEP_1) | instskip(NEXT) | instid1(VALU_DEP_1)
	v_sub_nc_u32_e32 v10, v12, v11
	v_mad_u32 v7, v10, s43, v7
	s_delay_alu instid0(VALU_DEP_4)
	v_mad_u32 v6, v10, s42, v6
	s_cbranch_scc1 .LBB13_62
; %bb.63:
	s_and_b32 s4, s1, 3
	s_mov_b32 s1, 0
	s_cmp_eq_u32 s4, 0
	s_cbranch_scc0 .LBB13_67
	s_branch .LBB13_69
.LBB13_64:
	s_mov_b32 s6, -1
                                        ; implicit-def: $vgpr7
	s_branch .LBB13_69
.LBB13_65:
	v_dual_mov_b32 v7, 0 :: v_dual_mov_b32 v6, 0
	s_branch .LBB13_69
.LBB13_66:
	v_mov_b64_e32 v[6:7], 0
	v_mov_b32_e32 v9, v8
	s_mov_b32 s0, 0
	s_and_b32 s4, s1, 3
	s_mov_b32 s1, 0
	s_cmp_eq_u32 s4, 0
	s_cbranch_scc1 .LBB13_69
.LBB13_67:
	s_lshl_b32 s2, s0, 3
	s_mov_b32 s3, s1
	s_mul_u64 s[8:9], s[0:1], 12
	s_add_nc_u64 s[2:3], s[12:13], s[2:3]
	s_delay_alu instid0(SALU_CYCLE_1)
	s_add_nc_u64 s[0:1], s[2:3], 0xc4
	s_add_nc_u64 s[2:3], s[12:13], s[8:9]
.LBB13_68:                              ; =>This Inner Loop Header: Depth=1
	s_load_b96 s[8:10], s[2:3], 0x4
	s_add_co_i32 s4, s4, -1
	s_wait_xcnt 0x0
	s_add_nc_u64 s[2:3], s[2:3], 12
	s_cmp_lg_u32 s4, 0
	s_wait_kmcnt 0x0
	v_mul_hi_u32 v10, s9, v9
	s_delay_alu instid0(VALU_DEP_1) | instskip(NEXT) | instid1(VALU_DEP_1)
	v_add_nc_u32_e32 v10, v9, v10
	v_lshrrev_b32_e32 v10, s10, v10
	s_load_b64 s[10:11], s[0:1], 0x0
	s_wait_xcnt 0x0
	s_add_nc_u64 s[0:1], s[0:1], 8
	s_delay_alu instid0(VALU_DEP_1) | instskip(NEXT) | instid1(VALU_DEP_1)
	v_mul_lo_u32 v11, v10, s8
	v_sub_nc_u32_e32 v9, v9, v11
	s_wait_kmcnt 0x0
	s_delay_alu instid0(VALU_DEP_1)
	v_mad_u32 v7, v9, s11, v7
	v_mad_u32 v6, v9, s10, v6
	v_mov_b32_e32 v9, v10
	s_cbranch_scc1 .LBB13_68
.LBB13_69:
	s_and_not1_b32 vcc_lo, exec_lo, s6
	s_cbranch_vccnz .LBB13_72
; %bb.70:
	s_clause 0x1
	s_load_b96 s[0:2], s[12:13], 0x4
	s_load_b64 s[4:5], s[12:13], 0xc4
	s_cmp_lt_u32 s28, 2
	s_wait_kmcnt 0x0
	v_mul_hi_u32 v6, s1, v8
	s_delay_alu instid0(VALU_DEP_1) | instskip(NEXT) | instid1(VALU_DEP_1)
	v_add_nc_u32_e32 v6, v8, v6
	v_lshrrev_b32_e32 v9, s2, v6
	s_delay_alu instid0(VALU_DEP_1) | instskip(NEXT) | instid1(VALU_DEP_1)
	v_mul_lo_u32 v6, v9, s0
	v_sub_nc_u32_e32 v6, v8, v6
	s_delay_alu instid0(VALU_DEP_1)
	v_mul_lo_u32 v7, v6, s5
	v_mul_lo_u32 v6, v6, s4
	s_cbranch_scc1 .LBB13_72
; %bb.71:
	s_clause 0x1
	s_load_b96 s[0:2], s[12:13], 0x10
	s_load_b64 s[4:5], s[12:13], 0xcc
	s_wait_kmcnt 0x0
	v_mul_hi_u32 v8, s1, v9
	s_delay_alu instid0(VALU_DEP_1) | instskip(NEXT) | instid1(VALU_DEP_1)
	v_add_nc_u32_e32 v8, v9, v8
	v_lshrrev_b32_e32 v8, s2, v8
	s_delay_alu instid0(VALU_DEP_1) | instskip(NEXT) | instid1(VALU_DEP_1)
	v_mul_lo_u32 v8, v8, s0
	v_sub_nc_u32_e32 v8, v9, v8
	s_delay_alu instid0(VALU_DEP_1)
	v_mad_u32 v6, v8, s4, v6
	v_mad_u32 v7, v8, s5, v7
.LBB13_72:
	s_clause 0x1
	s_load_b128 s[0:3], s[12:13], 0x148
	s_load_b32 s4, s[12:13], 0x158
	s_mov_b32 s5, exec_lo
	v_mov_b32_e32 v8, 1.0
	s_wait_kmcnt 0x0
	global_load_b32 v9, v3, s[2:3]
	s_wait_xcnt 0x0
	v_mov_b32_e32 v3, 1.0
	s_wait_loadcnt 0x0
	v_cmpx_lt_f32_e32 s4, v9
	s_cbranch_execz .LBB13_74
; %bb.73:
	v_add_f32_e32 v8, 0x33d6bf95, v9
	s_delay_alu instid0(VALU_DEP_1) | instskip(NEXT) | instid1(VALU_DEP_1)
	v_div_scale_f32 v9, null, v8, v8, s4
	v_rcp_f32_e32 v10, v9
	v_nop
	s_delay_alu instid0(TRANS32_DEP_1) | instskip(NEXT) | instid1(VALU_DEP_1)
	v_fma_f32 v11, -v9, v10, 1.0
	v_fmac_f32_e32 v10, v11, v10
	v_div_scale_f32 v11, vcc_lo, s4, v8, s4
	s_delay_alu instid0(VALU_DEP_1) | instskip(NEXT) | instid1(VALU_DEP_1)
	v_mul_f32_e32 v12, v11, v10
	v_fma_f32 v13, -v9, v12, v11
	s_delay_alu instid0(VALU_DEP_1) | instskip(NEXT) | instid1(VALU_DEP_1)
	v_fmac_f32_e32 v12, v13, v10
	v_fma_f32 v9, -v9, v12, v11
	s_delay_alu instid0(VALU_DEP_1) | instskip(NEXT) | instid1(VALU_DEP_1)
	v_div_fmas_f32 v9, v9, v10, v12
	v_div_fixup_f32 v8, v9, v8, s4
.LBB13_74:
	s_or_b32 exec_lo, exec_lo, s5
	global_load_b32 v5, v5, s[2:3]
	s_mov_b32 s5, exec_lo
	s_wait_loadcnt 0x0
	v_cmpx_lt_f32_e32 s4, v5
	s_cbranch_execz .LBB13_76
; %bb.75:
	v_add_f32_e32 v3, 0x33d6bf95, v5
	s_delay_alu instid0(VALU_DEP_1) | instskip(NEXT) | instid1(VALU_DEP_1)
	v_div_scale_f32 v5, null, v3, v3, s4
	v_rcp_f32_e32 v9, v5
	v_nop
	s_delay_alu instid0(TRANS32_DEP_1) | instskip(NEXT) | instid1(VALU_DEP_1)
	v_fma_f32 v10, -v5, v9, 1.0
	v_fmac_f32_e32 v9, v10, v9
	v_div_scale_f32 v10, vcc_lo, s4, v3, s4
	s_delay_alu instid0(VALU_DEP_1) | instskip(NEXT) | instid1(VALU_DEP_1)
	v_mul_f32_e32 v11, v10, v9
	v_fma_f32 v12, -v5, v11, v10
	s_delay_alu instid0(VALU_DEP_1) | instskip(NEXT) | instid1(VALU_DEP_1)
	v_fmac_f32_e32 v11, v12, v9
	v_fma_f32 v5, -v5, v11, v10
	s_delay_alu instid0(VALU_DEP_1) | instskip(NEXT) | instid1(VALU_DEP_1)
	v_div_fmas_f32 v5, v5, v9, v11
	v_div_fixup_f32 v3, v5, v3, s4
.LBB13_76:
	s_or_b32 exec_lo, exec_lo, s5
	global_load_b32 v9, v1, s[2:3]
	s_wait_xcnt 0x0
	v_dual_mov_b32 v1, 1.0 :: v_dual_mov_b32 v5, 1.0
	s_mov_b32 s5, exec_lo
	s_wait_loadcnt 0x0
	v_cmpx_lt_f32_e32 s4, v9
	s_cbranch_execz .LBB13_78
; %bb.77:
	v_add_f32_e32 v5, 0x33d6bf95, v9
	s_delay_alu instid0(VALU_DEP_1) | instskip(NEXT) | instid1(VALU_DEP_1)
	v_div_scale_f32 v9, null, v5, v5, s4
	v_rcp_f32_e32 v10, v9
	v_nop
	s_delay_alu instid0(TRANS32_DEP_1) | instskip(NEXT) | instid1(VALU_DEP_1)
	v_fma_f32 v11, -v9, v10, 1.0
	v_fmac_f32_e32 v10, v11, v10
	v_div_scale_f32 v11, vcc_lo, s4, v5, s4
	s_delay_alu instid0(VALU_DEP_1) | instskip(NEXT) | instid1(VALU_DEP_1)
	v_mul_f32_e32 v12, v11, v10
	v_fma_f32 v13, -v9, v12, v11
	s_delay_alu instid0(VALU_DEP_1) | instskip(NEXT) | instid1(VALU_DEP_1)
	v_fmac_f32_e32 v12, v13, v10
	v_fma_f32 v9, -v9, v12, v11
	s_delay_alu instid0(VALU_DEP_1) | instskip(NEXT) | instid1(VALU_DEP_1)
	v_div_fmas_f32 v9, v9, v10, v12
	v_div_fixup_f32 v5, v9, v5, s4
.LBB13_78:
	s_or_b32 exec_lo, exec_lo, s5
	global_load_b32 v7, v7, s[2:3]
	s_wait_xcnt 0x0
	s_mov_b32 s2, exec_lo
	s_wait_loadcnt 0x0
	v_cmpx_lt_f32_e32 s4, v7
	s_cbranch_execz .LBB13_80
; %bb.79:
	v_add_f32_e32 v1, 0x33d6bf95, v7
	s_delay_alu instid0(VALU_DEP_1) | instskip(NEXT) | instid1(VALU_DEP_1)
	v_div_scale_f32 v7, null, v1, v1, s4
	v_rcp_f32_e32 v9, v7
	v_nop
	s_delay_alu instid0(TRANS32_DEP_1) | instskip(NEXT) | instid1(VALU_DEP_1)
	v_fma_f32 v10, -v7, v9, 1.0
	v_fmac_f32_e32 v9, v10, v9
	v_div_scale_f32 v10, vcc_lo, s4, v1, s4
	s_delay_alu instid0(VALU_DEP_1) | instskip(NEXT) | instid1(VALU_DEP_1)
	v_mul_f32_e32 v11, v10, v9
	v_fma_f32 v12, -v7, v11, v10
	s_delay_alu instid0(VALU_DEP_1) | instskip(NEXT) | instid1(VALU_DEP_1)
	v_fmac_f32_e32 v11, v12, v9
	v_fma_f32 v7, -v7, v11, v10
	s_delay_alu instid0(VALU_DEP_1) | instskip(NEXT) | instid1(VALU_DEP_1)
	v_div_fmas_f32 v7, v7, v9, v11
	v_div_fixup_f32 v1, v7, v1, s4
.LBB13_80:
	s_or_b32 exec_lo, exec_lo, s2
	s_clause 0x3
	global_store_b32 v2, v8, s[0:1]
	global_store_b32 v4, v3, s[0:1]
	;; [unrolled: 1-line block ×4, first 2 shown]
	s_endpgm
.LBB13_81:
	v_dual_mov_b32 v3, 0 :: v_dual_mov_b32 v2, 0
	s_branch .LBB13_87
.LBB13_82:
	v_dual_mov_b32 v3, 0 :: v_dual_mov_b32 v2, 0
	s_branch .LBB13_105
.LBB13_83:
	v_mov_b64_e32 v[2:3], 0
	v_mov_b32_e32 v1, v0
	s_mov_b32 s22, 0
.LBB13_84:
	s_and_b32 s14, s14, 3
	s_mov_b32 s23, 0
	s_cmp_eq_u32 s14, 0
	s_cbranch_scc1 .LBB13_87
; %bb.85:
	s_lshl_b32 s24, s22, 3
	s_mov_b32 s25, s23
	s_mul_u64 s[26:27], s[22:23], 12
	s_add_nc_u64 s[24:25], s[12:13], s[24:25]
	s_delay_alu instid0(SALU_CYCLE_1)
	s_add_nc_u64 s[22:23], s[24:25], 0xc4
	s_add_nc_u64 s[24:25], s[12:13], s[26:27]
.LBB13_86:                              ; =>This Inner Loop Header: Depth=1
	s_load_b96 s[40:42], s[24:25], 0x4
	s_load_b64 s[26:27], s[22:23], 0x0
	s_add_co_i32 s14, s14, -1
	s_wait_xcnt 0x0
	s_add_nc_u64 s[24:25], s[24:25], 12
	s_cmp_lg_u32 s14, 0
	s_add_nc_u64 s[22:23], s[22:23], 8
	s_wait_kmcnt 0x0
	v_mul_hi_u32 v4, s41, v1
	s_delay_alu instid0(VALU_DEP_1) | instskip(NEXT) | instid1(VALU_DEP_1)
	v_add_nc_u32_e32 v4, v1, v4
	v_lshrrev_b32_e32 v4, s42, v4
	s_delay_alu instid0(VALU_DEP_1) | instskip(NEXT) | instid1(VALU_DEP_1)
	v_mul_lo_u32 v5, v4, s40
	v_sub_nc_u32_e32 v1, v1, v5
	s_delay_alu instid0(VALU_DEP_1)
	v_mad_u32 v3, v1, s27, v3
	v_mad_u32 v2, v1, s26, v2
	v_mov_b32_e32 v1, v4
	s_cbranch_scc1 .LBB13_86
.LBB13_87:
	s_cbranch_execnz .LBB13_90
.LBB13_88:
	v_mov_b32_e32 v1, 0
	s_and_not1_b32 vcc_lo, exec_lo, s34
	s_delay_alu instid0(VALU_DEP_1) | instskip(NEXT) | instid1(VALU_DEP_1)
	v_mul_u64_e32 v[2:3], s[16:17], v[0:1]
	v_add_nc_u32_e32 v2, v0, v3
	s_delay_alu instid0(VALU_DEP_1) | instskip(NEXT) | instid1(VALU_DEP_1)
	v_lshrrev_b32_e32 v4, s6, v2
	v_mul_lo_u32 v2, v4, s4
	s_delay_alu instid0(VALU_DEP_1) | instskip(NEXT) | instid1(VALU_DEP_1)
	v_sub_nc_u32_e32 v2, v0, v2
	v_mul_lo_u32 v3, v2, s9
	v_mul_lo_u32 v2, v2, s8
	s_cbranch_vccnz .LBB13_90
; %bb.89:
	v_mov_b32_e32 v5, v1
	s_delay_alu instid0(VALU_DEP_1) | instskip(NEXT) | instid1(VALU_DEP_1)
	v_mul_u64_e32 v[6:7], s[18:19], v[4:5]
	v_add_nc_u32_e32 v1, v4, v7
	s_delay_alu instid0(VALU_DEP_1) | instskip(NEXT) | instid1(VALU_DEP_1)
	v_lshrrev_b32_e32 v1, s15, v1
	v_mul_lo_u32 v1, v1, s7
	s_delay_alu instid0(VALU_DEP_1) | instskip(NEXT) | instid1(VALU_DEP_1)
	v_sub_nc_u32_e32 v1, v4, v1
	v_mad_u32 v2, v1, s10, v2
	v_mad_u32 v3, v1, s11, v3
.LBB13_90:
	global_load_b32 v3, v3, s[2:3]
	v_mov_b32_e32 v1, 1.0
	s_mov_b32 s14, exec_lo
	s_wait_loadcnt 0x0
	v_cmpx_lt_f32_e32 s33, v3
	s_cbranch_execz .LBB13_92
; %bb.91:
	v_add_f32_e32 v1, 0x33d6bf95, v3
	s_delay_alu instid0(VALU_DEP_1) | instskip(NEXT) | instid1(VALU_DEP_1)
	v_div_scale_f32 v3, null, v1, v1, s33
	v_rcp_f32_e32 v4, v3
	v_nop
	s_delay_alu instid0(TRANS32_DEP_1) | instskip(NEXT) | instid1(VALU_DEP_1)
	v_fma_f32 v5, -v3, v4, 1.0
	v_fmac_f32_e32 v4, v5, v4
	v_div_scale_f32 v5, vcc_lo, s33, v1, s33
	s_delay_alu instid0(VALU_DEP_1) | instskip(NEXT) | instid1(VALU_DEP_1)
	v_mul_f32_e32 v6, v5, v4
	v_fma_f32 v7, -v3, v6, v5
	s_delay_alu instid0(VALU_DEP_1) | instskip(NEXT) | instid1(VALU_DEP_1)
	v_fmac_f32_e32 v6, v7, v4
	v_fma_f32 v3, -v3, v6, v5
	s_delay_alu instid0(VALU_DEP_1) | instskip(NEXT) | instid1(VALU_DEP_1)
	v_div_fmas_f32 v3, v3, v4, v6
	v_div_fixup_f32 v1, v3, v1, s33
.LBB13_92:
	s_or_b32 exec_lo, exec_lo, s14
	v_add_nc_u32_e32 v0, 0x80, v0
	global_store_b32 v2, v1, s[0:1]
	s_wait_xcnt 0x0
	s_or_b32 exec_lo, exec_lo, s5
	s_delay_alu instid0(SALU_CYCLE_1)
	s_mov_b32 s5, exec_lo
	v_cmpx_gt_i32_e64 s35, v0
	s_cbranch_execnz .LBB13_15
.LBB13_93:
	s_or_b32 exec_lo, exec_lo, s5
	s_delay_alu instid0(SALU_CYCLE_1)
	s_mov_b32 s5, exec_lo
	v_cmpx_gt_i32_e64 s35, v0
	s_cbranch_execz .LBB13_111
.LBB13_94:
	s_and_not1_b32 vcc_lo, exec_lo, s30
	s_cbranch_vccnz .LBB13_99
; %bb.95:
	s_and_not1_b32 vcc_lo, exec_lo, s37
	s_cbranch_vccnz .LBB13_100
; %bb.96:
	s_add_co_i32 s14, s36, 1
	s_cmp_eq_u32 s29, 2
	s_cbranch_scc1 .LBB13_114
; %bb.97:
	v_dual_mov_b32 v2, 0 :: v_dual_mov_b32 v3, 0
	v_mov_b32_e32 v1, v0
	s_and_b32 s22, s14, 28
	s_mov_b32 s23, 0
	s_mov_b64 s[24:25], s[12:13]
	s_mov_b64 s[26:27], s[20:21]
.LBB13_98:                              ; =>This Inner Loop Header: Depth=1
	s_clause 0x1
	s_load_b256 s[40:47], s[24:25], 0x4
	s_load_b128 s[56:59], s[24:25], 0x24
	s_load_b256 s[48:55], s[26:27], 0x0
	s_add_co_i32 s23, s23, 4
	s_wait_xcnt 0x0
	s_add_nc_u64 s[24:25], s[24:25], 48
	s_cmp_eq_u32 s22, s23
	s_add_nc_u64 s[26:27], s[26:27], 32
	s_wait_kmcnt 0x0
	v_mul_hi_u32 v4, s41, v1
	s_delay_alu instid0(VALU_DEP_1) | instskip(NEXT) | instid1(VALU_DEP_1)
	v_add_nc_u32_e32 v4, v1, v4
	v_lshrrev_b32_e32 v4, s42, v4
	s_delay_alu instid0(VALU_DEP_1) | instskip(NEXT) | instid1(VALU_DEP_1)
	v_mul_hi_u32 v5, s44, v4
	v_add_nc_u32_e32 v5, v4, v5
	s_delay_alu instid0(VALU_DEP_1) | instskip(NEXT) | instid1(VALU_DEP_1)
	v_lshrrev_b32_e32 v5, s45, v5
	v_mul_hi_u32 v6, s47, v5
	s_delay_alu instid0(VALU_DEP_1) | instskip(SKIP_1) | instid1(VALU_DEP_1)
	v_add_nc_u32_e32 v6, v5, v6
	v_mul_lo_u32 v7, v4, s40
	v_sub_nc_u32_e32 v1, v1, v7
	v_mul_lo_u32 v7, v5, s43
	s_delay_alu instid0(VALU_DEP_4) | instskip(NEXT) | instid1(VALU_DEP_3)
	v_lshrrev_b32_e32 v6, s56, v6
	v_mad_u32 v3, v1, s49, v3
	v_mad_u32 v1, v1, s48, v2
	s_delay_alu instid0(VALU_DEP_4) | instskip(NEXT) | instid1(VALU_DEP_4)
	v_sub_nc_u32_e32 v2, v4, v7
	v_mul_hi_u32 v8, s58, v6
	v_mul_lo_u32 v4, v6, s46
	s_delay_alu instid0(VALU_DEP_3) | instskip(SKIP_1) | instid1(VALU_DEP_4)
	v_mad_u32 v3, v2, s51, v3
	v_mad_u32 v2, v2, s50, v1
	v_add_nc_u32_e32 v7, v6, v8
	s_delay_alu instid0(VALU_DEP_1) | instskip(NEXT) | instid1(VALU_DEP_1)
	v_dual_sub_nc_u32 v4, v5, v4 :: v_dual_lshrrev_b32 v1, s59, v7
	v_mad_u32 v3, v4, s53, v3
	s_delay_alu instid0(VALU_DEP_4) | instskip(NEXT) | instid1(VALU_DEP_3)
	v_mad_u32 v2, v4, s52, v2
	v_mul_lo_u32 v5, v1, s57
	s_delay_alu instid0(VALU_DEP_1) | instskip(NEXT) | instid1(VALU_DEP_1)
	v_sub_nc_u32_e32 v4, v6, v5
	v_mad_u32 v3, v4, s55, v3
	s_delay_alu instid0(VALU_DEP_4)
	v_mad_u32 v2, v4, s54, v2
	s_cbranch_scc0 .LBB13_98
	s_branch .LBB13_115
.LBB13_99:
                                        ; implicit-def: $vgpr3
	s_branch .LBB13_119
.LBB13_100:
	v_dual_mov_b32 v3, 0 :: v_dual_mov_b32 v2, 0
	s_branch .LBB13_118
.LBB13_101:
	v_mov_b64_e32 v[2:3], 0
	v_mov_b32_e32 v1, v0
	s_mov_b32 s22, 0
.LBB13_102:
	s_and_b32 s14, s14, 3
	s_mov_b32 s23, 0
	s_cmp_eq_u32 s14, 0
	s_cbranch_scc1 .LBB13_105
; %bb.103:
	s_lshl_b32 s24, s22, 3
	s_mov_b32 s25, s23
	s_mul_u64 s[26:27], s[22:23], 12
	s_add_nc_u64 s[24:25], s[12:13], s[24:25]
	s_delay_alu instid0(SALU_CYCLE_1)
	s_add_nc_u64 s[22:23], s[24:25], 0xc4
	s_add_nc_u64 s[24:25], s[12:13], s[26:27]
.LBB13_104:                             ; =>This Inner Loop Header: Depth=1
	s_load_b96 s[40:42], s[24:25], 0x4
	s_load_b64 s[26:27], s[22:23], 0x0
	s_add_co_i32 s14, s14, -1
	s_wait_xcnt 0x0
	s_add_nc_u64 s[24:25], s[24:25], 12
	s_cmp_lg_u32 s14, 0
	s_add_nc_u64 s[22:23], s[22:23], 8
	s_wait_kmcnt 0x0
	v_mul_hi_u32 v4, s41, v1
	s_delay_alu instid0(VALU_DEP_1) | instskip(NEXT) | instid1(VALU_DEP_1)
	v_add_nc_u32_e32 v4, v1, v4
	v_lshrrev_b32_e32 v4, s42, v4
	s_delay_alu instid0(VALU_DEP_1) | instskip(NEXT) | instid1(VALU_DEP_1)
	v_mul_lo_u32 v5, v4, s40
	v_sub_nc_u32_e32 v1, v1, v5
	s_delay_alu instid0(VALU_DEP_1)
	v_mad_u32 v3, v1, s27, v3
	v_mad_u32 v2, v1, s26, v2
	v_mov_b32_e32 v1, v4
	s_cbranch_scc1 .LBB13_104
.LBB13_105:
	s_cbranch_execnz .LBB13_108
.LBB13_106:
	v_mov_b32_e32 v1, 0
	s_and_not1_b32 vcc_lo, exec_lo, s34
	s_delay_alu instid0(VALU_DEP_1) | instskip(NEXT) | instid1(VALU_DEP_1)
	v_mul_u64_e32 v[2:3], s[16:17], v[0:1]
	v_add_nc_u32_e32 v2, v0, v3
	s_delay_alu instid0(VALU_DEP_1) | instskip(NEXT) | instid1(VALU_DEP_1)
	v_lshrrev_b32_e32 v4, s6, v2
	v_mul_lo_u32 v2, v4, s4
	s_delay_alu instid0(VALU_DEP_1) | instskip(NEXT) | instid1(VALU_DEP_1)
	v_sub_nc_u32_e32 v2, v0, v2
	v_mul_lo_u32 v3, v2, s9
	v_mul_lo_u32 v2, v2, s8
	s_cbranch_vccnz .LBB13_108
; %bb.107:
	v_mov_b32_e32 v5, v1
	s_delay_alu instid0(VALU_DEP_1) | instskip(NEXT) | instid1(VALU_DEP_1)
	v_mul_u64_e32 v[6:7], s[18:19], v[4:5]
	v_add_nc_u32_e32 v1, v4, v7
	s_delay_alu instid0(VALU_DEP_1) | instskip(NEXT) | instid1(VALU_DEP_1)
	v_lshrrev_b32_e32 v1, s15, v1
	v_mul_lo_u32 v1, v1, s7
	s_delay_alu instid0(VALU_DEP_1) | instskip(NEXT) | instid1(VALU_DEP_1)
	v_sub_nc_u32_e32 v1, v4, v1
	v_mad_u32 v2, v1, s10, v2
	v_mad_u32 v3, v1, s11, v3
.LBB13_108:
	global_load_b32 v3, v3, s[2:3]
	v_mov_b32_e32 v1, 1.0
	s_mov_b32 s14, exec_lo
	s_wait_loadcnt 0x0
	v_cmpx_lt_f32_e32 s33, v3
	s_cbranch_execz .LBB13_110
; %bb.109:
	v_add_f32_e32 v1, 0x33d6bf95, v3
	s_delay_alu instid0(VALU_DEP_1) | instskip(NEXT) | instid1(VALU_DEP_1)
	v_div_scale_f32 v3, null, v1, v1, s33
	v_rcp_f32_e32 v4, v3
	v_nop
	s_delay_alu instid0(TRANS32_DEP_1) | instskip(NEXT) | instid1(VALU_DEP_1)
	v_fma_f32 v5, -v3, v4, 1.0
	v_fmac_f32_e32 v4, v5, v4
	v_div_scale_f32 v5, vcc_lo, s33, v1, s33
	s_delay_alu instid0(VALU_DEP_1) | instskip(NEXT) | instid1(VALU_DEP_1)
	v_mul_f32_e32 v6, v5, v4
	v_fma_f32 v7, -v3, v6, v5
	s_delay_alu instid0(VALU_DEP_1) | instskip(NEXT) | instid1(VALU_DEP_1)
	v_fmac_f32_e32 v6, v7, v4
	v_fma_f32 v3, -v3, v6, v5
	s_delay_alu instid0(VALU_DEP_1) | instskip(NEXT) | instid1(VALU_DEP_1)
	v_div_fmas_f32 v3, v3, v4, v6
	v_div_fixup_f32 v1, v3, v1, s33
.LBB13_110:
	s_or_b32 exec_lo, exec_lo, s14
	v_add_nc_u32_e32 v0, 0x80, v0
	global_store_b32 v2, v1, s[0:1]
	s_wait_xcnt 0x0
	s_or_b32 exec_lo, exec_lo, s5
	s_delay_alu instid0(SALU_CYCLE_1)
	s_mov_b32 s5, exec_lo
	v_cmpx_gt_i32_e64 s35, v0
	s_cbranch_execnz .LBB13_94
.LBB13_111:
	s_or_b32 exec_lo, exec_lo, s5
	s_delay_alu instid0(SALU_CYCLE_1)
	s_mov_b32 s5, exec_lo
	v_cmpx_gt_i32_e64 s35, v0
	s_cbranch_execnz .LBB13_124
.LBB13_112:
	s_or_b32 exec_lo, exec_lo, s5
                                        ; implicit-def: $vgpr8
                                        ; implicit-def: $vgpr0
	s_and_not1_saveexec_b32 s0, s31
	s_cbranch_execnz .LBB13_8
.LBB13_113:
	s_endpgm
.LBB13_114:
	v_mov_b64_e32 v[2:3], 0
	v_mov_b32_e32 v1, v0
	s_mov_b32 s22, 0
.LBB13_115:
	s_and_b32 s14, s14, 3
	s_mov_b32 s23, 0
	s_cmp_eq_u32 s14, 0
	s_cbranch_scc1 .LBB13_118
; %bb.116:
	s_lshl_b32 s24, s22, 3
	s_mov_b32 s25, s23
	s_mul_u64 s[26:27], s[22:23], 12
	s_add_nc_u64 s[24:25], s[12:13], s[24:25]
	s_delay_alu instid0(SALU_CYCLE_1)
	s_add_nc_u64 s[22:23], s[24:25], 0xc4
	s_add_nc_u64 s[24:25], s[12:13], s[26:27]
.LBB13_117:                             ; =>This Inner Loop Header: Depth=1
	s_load_b96 s[40:42], s[24:25], 0x4
	s_load_b64 s[26:27], s[22:23], 0x0
	s_add_co_i32 s14, s14, -1
	s_wait_xcnt 0x0
	s_add_nc_u64 s[24:25], s[24:25], 12
	s_cmp_lg_u32 s14, 0
	s_add_nc_u64 s[22:23], s[22:23], 8
	s_wait_kmcnt 0x0
	v_mul_hi_u32 v4, s41, v1
	s_delay_alu instid0(VALU_DEP_1) | instskip(NEXT) | instid1(VALU_DEP_1)
	v_add_nc_u32_e32 v4, v1, v4
	v_lshrrev_b32_e32 v4, s42, v4
	s_delay_alu instid0(VALU_DEP_1) | instskip(NEXT) | instid1(VALU_DEP_1)
	v_mul_lo_u32 v5, v4, s40
	v_sub_nc_u32_e32 v1, v1, v5
	s_delay_alu instid0(VALU_DEP_1)
	v_mad_u32 v3, v1, s27, v3
	v_mad_u32 v2, v1, s26, v2
	v_mov_b32_e32 v1, v4
	s_cbranch_scc1 .LBB13_117
.LBB13_118:
	s_cbranch_execnz .LBB13_121
.LBB13_119:
	v_mov_b32_e32 v1, 0
	s_and_not1_b32 vcc_lo, exec_lo, s34
	s_delay_alu instid0(VALU_DEP_1) | instskip(NEXT) | instid1(VALU_DEP_1)
	v_mul_u64_e32 v[2:3], s[16:17], v[0:1]
	v_add_nc_u32_e32 v2, v0, v3
	s_delay_alu instid0(VALU_DEP_1) | instskip(NEXT) | instid1(VALU_DEP_1)
	v_lshrrev_b32_e32 v4, s6, v2
	v_mul_lo_u32 v2, v4, s4
	s_delay_alu instid0(VALU_DEP_1) | instskip(NEXT) | instid1(VALU_DEP_1)
	v_sub_nc_u32_e32 v2, v0, v2
	v_mul_lo_u32 v3, v2, s9
	v_mul_lo_u32 v2, v2, s8
	s_cbranch_vccnz .LBB13_121
; %bb.120:
	v_mov_b32_e32 v5, v1
	s_delay_alu instid0(VALU_DEP_1) | instskip(NEXT) | instid1(VALU_DEP_1)
	v_mul_u64_e32 v[6:7], s[18:19], v[4:5]
	v_add_nc_u32_e32 v1, v4, v7
	s_delay_alu instid0(VALU_DEP_1) | instskip(NEXT) | instid1(VALU_DEP_1)
	v_lshrrev_b32_e32 v1, s15, v1
	v_mul_lo_u32 v1, v1, s7
	s_delay_alu instid0(VALU_DEP_1) | instskip(NEXT) | instid1(VALU_DEP_1)
	v_sub_nc_u32_e32 v1, v4, v1
	v_mad_u32 v2, v1, s10, v2
	v_mad_u32 v3, v1, s11, v3
.LBB13_121:
	global_load_b32 v3, v3, s[2:3]
	v_mov_b32_e32 v1, 1.0
	s_mov_b32 s14, exec_lo
	s_wait_loadcnt 0x0
	v_cmpx_lt_f32_e32 s33, v3
	s_cbranch_execz .LBB13_123
; %bb.122:
	v_add_f32_e32 v1, 0x33d6bf95, v3
	s_delay_alu instid0(VALU_DEP_1) | instskip(NEXT) | instid1(VALU_DEP_1)
	v_div_scale_f32 v3, null, v1, v1, s33
	v_rcp_f32_e32 v4, v3
	v_nop
	s_delay_alu instid0(TRANS32_DEP_1) | instskip(NEXT) | instid1(VALU_DEP_1)
	v_fma_f32 v5, -v3, v4, 1.0
	v_fmac_f32_e32 v4, v5, v4
	v_div_scale_f32 v5, vcc_lo, s33, v1, s33
	s_delay_alu instid0(VALU_DEP_1) | instskip(NEXT) | instid1(VALU_DEP_1)
	v_mul_f32_e32 v6, v5, v4
	v_fma_f32 v7, -v3, v6, v5
	s_delay_alu instid0(VALU_DEP_1) | instskip(NEXT) | instid1(VALU_DEP_1)
	v_fmac_f32_e32 v6, v7, v4
	v_fma_f32 v3, -v3, v6, v5
	s_delay_alu instid0(VALU_DEP_1) | instskip(NEXT) | instid1(VALU_DEP_1)
	v_div_fmas_f32 v3, v3, v4, v6
	v_div_fixup_f32 v1, v3, v1, s33
.LBB13_123:
	s_or_b32 exec_lo, exec_lo, s14
	v_add_nc_u32_e32 v0, 0x80, v0
	global_store_b32 v2, v1, s[0:1]
	s_wait_xcnt 0x0
	s_or_b32 exec_lo, exec_lo, s5
	s_delay_alu instid0(SALU_CYCLE_1)
	s_mov_b32 s5, exec_lo
	v_cmpx_gt_i32_e64 s35, v0
	s_cbranch_execz .LBB13_112
.LBB13_124:
	s_and_not1_b32 vcc_lo, exec_lo, s30
	s_cbranch_vccnz .LBB13_129
; %bb.125:
	s_and_not1_b32 vcc_lo, exec_lo, s37
	s_cbranch_vccnz .LBB13_130
; %bb.126:
	s_add_co_i32 s36, s36, 1
	s_cmp_eq_u32 s29, 2
	s_cbranch_scc1 .LBB13_131
; %bb.127:
	v_dual_mov_b32 v2, 0 :: v_dual_mov_b32 v3, 0
	v_mov_b32_e32 v1, v0
	s_and_b32 s22, s36, 28
	s_mov_b32 s14, 0
	s_mov_b64 s[24:25], s[12:13]
.LBB13_128:                             ; =>This Inner Loop Header: Depth=1
	s_clause 0x1
	s_load_b256 s[40:47], s[24:25], 0x4
	s_load_b128 s[56:59], s[24:25], 0x24
	s_load_b256 s[48:55], s[20:21], 0x0
	s_add_co_i32 s14, s14, 4
	s_wait_xcnt 0x0
	s_add_nc_u64 s[24:25], s[24:25], 48
	s_cmp_eq_u32 s22, s14
	s_add_nc_u64 s[20:21], s[20:21], 32
	s_wait_kmcnt 0x0
	v_mul_hi_u32 v4, s41, v1
	s_delay_alu instid0(VALU_DEP_1) | instskip(NEXT) | instid1(VALU_DEP_1)
	v_add_nc_u32_e32 v4, v1, v4
	v_lshrrev_b32_e32 v4, s42, v4
	s_delay_alu instid0(VALU_DEP_1) | instskip(NEXT) | instid1(VALU_DEP_1)
	v_mul_hi_u32 v5, s44, v4
	v_add_nc_u32_e32 v5, v4, v5
	s_delay_alu instid0(VALU_DEP_1) | instskip(NEXT) | instid1(VALU_DEP_1)
	v_lshrrev_b32_e32 v5, s45, v5
	v_mul_hi_u32 v6, s47, v5
	s_delay_alu instid0(VALU_DEP_1) | instskip(SKIP_1) | instid1(VALU_DEP_1)
	v_add_nc_u32_e32 v6, v5, v6
	v_mul_lo_u32 v7, v4, s40
	v_sub_nc_u32_e32 v1, v1, v7
	v_mul_lo_u32 v7, v5, s43
	s_delay_alu instid0(VALU_DEP_4) | instskip(NEXT) | instid1(VALU_DEP_3)
	v_lshrrev_b32_e32 v6, s56, v6
	v_mad_u32 v3, v1, s49, v3
	v_mad_u32 v1, v1, s48, v2
	s_delay_alu instid0(VALU_DEP_4) | instskip(NEXT) | instid1(VALU_DEP_4)
	v_sub_nc_u32_e32 v2, v4, v7
	v_mul_hi_u32 v8, s58, v6
	v_mul_lo_u32 v4, v6, s46
	s_delay_alu instid0(VALU_DEP_3) | instskip(SKIP_1) | instid1(VALU_DEP_4)
	v_mad_u32 v3, v2, s51, v3
	v_mad_u32 v2, v2, s50, v1
	v_add_nc_u32_e32 v7, v6, v8
	s_delay_alu instid0(VALU_DEP_1) | instskip(NEXT) | instid1(VALU_DEP_1)
	v_dual_sub_nc_u32 v4, v5, v4 :: v_dual_lshrrev_b32 v1, s59, v7
	v_mad_u32 v3, v4, s53, v3
	s_delay_alu instid0(VALU_DEP_4) | instskip(NEXT) | instid1(VALU_DEP_3)
	v_mad_u32 v2, v4, s52, v2
	v_mul_lo_u32 v5, v1, s57
	s_delay_alu instid0(VALU_DEP_1) | instskip(NEXT) | instid1(VALU_DEP_1)
	v_sub_nc_u32_e32 v4, v6, v5
	v_mad_u32 v3, v4, s55, v3
	s_delay_alu instid0(VALU_DEP_4)
	v_mad_u32 v2, v4, s54, v2
	s_cbranch_scc0 .LBB13_128
	s_branch .LBB13_132
.LBB13_129:
                                        ; implicit-def: $vgpr3
	s_branch .LBB13_136
.LBB13_130:
	v_dual_mov_b32 v3, 0 :: v_dual_mov_b32 v2, 0
	s_branch .LBB13_135
.LBB13_131:
	v_mov_b64_e32 v[2:3], 0
	v_mov_b32_e32 v1, v0
	s_mov_b32 s22, 0
.LBB13_132:
	s_and_b32 s14, s36, 3
	s_mov_b32 s23, 0
	s_cmp_eq_u32 s14, 0
	s_cbranch_scc1 .LBB13_135
; %bb.133:
	s_lshl_b32 s20, s22, 3
	s_mov_b32 s21, s23
	s_mul_u64 s[22:23], s[22:23], 12
	s_add_nc_u64 s[20:21], s[12:13], s[20:21]
	s_add_nc_u64 s[22:23], s[12:13], s[22:23]
	;; [unrolled: 1-line block ×3, first 2 shown]
.LBB13_134:                             ; =>This Inner Loop Header: Depth=1
	s_load_b96 s[24:26], s[22:23], 0x4
	s_add_co_i32 s14, s14, -1
	s_wait_xcnt 0x0
	s_add_nc_u64 s[22:23], s[22:23], 12
	s_cmp_lg_u32 s14, 0
	s_wait_kmcnt 0x0
	v_mul_hi_u32 v4, s25, v1
	s_delay_alu instid0(VALU_DEP_1) | instskip(NEXT) | instid1(VALU_DEP_1)
	v_add_nc_u32_e32 v4, v1, v4
	v_lshrrev_b32_e32 v4, s26, v4
	s_load_b64 s[26:27], s[20:21], 0x0
	s_wait_xcnt 0x0
	s_add_nc_u64 s[20:21], s[20:21], 8
	s_delay_alu instid0(VALU_DEP_1) | instskip(NEXT) | instid1(VALU_DEP_1)
	v_mul_lo_u32 v5, v4, s24
	v_sub_nc_u32_e32 v1, v1, v5
	s_wait_kmcnt 0x0
	s_delay_alu instid0(VALU_DEP_1)
	v_mad_u32 v3, v1, s27, v3
	v_mad_u32 v2, v1, s26, v2
	v_mov_b32_e32 v1, v4
	s_cbranch_scc1 .LBB13_134
.LBB13_135:
	s_cbranch_execnz .LBB13_138
.LBB13_136:
	v_mov_b32_e32 v1, 0
	s_and_not1_b32 vcc_lo, exec_lo, s34
	s_delay_alu instid0(VALU_DEP_1) | instskip(NEXT) | instid1(VALU_DEP_1)
	v_mul_u64_e32 v[2:3], s[16:17], v[0:1]
	v_add_nc_u32_e32 v2, v0, v3
	s_delay_alu instid0(VALU_DEP_1) | instskip(NEXT) | instid1(VALU_DEP_1)
	v_lshrrev_b32_e32 v4, s6, v2
	v_mul_lo_u32 v2, v4, s4
	s_delay_alu instid0(VALU_DEP_1) | instskip(NEXT) | instid1(VALU_DEP_1)
	v_sub_nc_u32_e32 v0, v0, v2
	v_mul_lo_u32 v3, v0, s9
	v_mul_lo_u32 v2, v0, s8
	s_cbranch_vccnz .LBB13_138
; %bb.137:
	v_mov_b32_e32 v5, v1
	s_delay_alu instid0(VALU_DEP_1) | instskip(NEXT) | instid1(VALU_DEP_1)
	v_mul_u64_e32 v[0:1], s[18:19], v[4:5]
	v_add_nc_u32_e32 v0, v4, v1
	s_delay_alu instid0(VALU_DEP_1) | instskip(NEXT) | instid1(VALU_DEP_1)
	v_lshrrev_b32_e32 v0, s15, v0
	v_mul_lo_u32 v0, v0, s7
	s_delay_alu instid0(VALU_DEP_1) | instskip(NEXT) | instid1(VALU_DEP_1)
	v_sub_nc_u32_e32 v0, v4, v0
	v_mad_u32 v2, v0, s10, v2
	v_mad_u32 v3, v0, s11, v3
.LBB13_138:
	global_load_b32 v1, v3, s[2:3]
	v_mov_b32_e32 v0, 1.0
	s_wait_xcnt 0x0
	s_mov_b32 s2, exec_lo
	s_wait_loadcnt 0x0
	v_cmpx_lt_f32_e32 s33, v1
	s_cbranch_execz .LBB13_140
; %bb.139:
	v_add_f32_e32 v0, 0x33d6bf95, v1
	s_delay_alu instid0(VALU_DEP_1) | instskip(NEXT) | instid1(VALU_DEP_1)
	v_div_scale_f32 v1, null, v0, v0, s33
	v_rcp_f32_e32 v3, v1
	v_nop
	s_delay_alu instid0(TRANS32_DEP_1) | instskip(NEXT) | instid1(VALU_DEP_1)
	v_fma_f32 v4, -v1, v3, 1.0
	v_fmac_f32_e32 v3, v4, v3
	v_div_scale_f32 v4, vcc_lo, s33, v0, s33
	s_delay_alu instid0(VALU_DEP_1) | instskip(NEXT) | instid1(VALU_DEP_1)
	v_mul_f32_e32 v5, v4, v3
	v_fma_f32 v6, -v1, v5, v4
	s_delay_alu instid0(VALU_DEP_1) | instskip(NEXT) | instid1(VALU_DEP_1)
	v_fmac_f32_e32 v5, v6, v3
	v_fma_f32 v1, -v1, v5, v4
	s_delay_alu instid0(VALU_DEP_1) | instskip(NEXT) | instid1(VALU_DEP_1)
	v_div_fmas_f32 v1, v1, v3, v5
	v_div_fixup_f32 v0, v1, v0, s33
.LBB13_140:
	s_or_b32 exec_lo, exec_lo, s2
	global_store_b32 v2, v0, s[0:1]
	s_wait_xcnt 0x0
	s_or_b32 exec_lo, exec_lo, s5
                                        ; implicit-def: $vgpr8
                                        ; implicit-def: $vgpr0
	s_and_not1_saveexec_b32 s0, s31
	s_cbranch_execz .LBB13_113
	s_branch .LBB13_8
	.section	.rodata,"a",@progbits
	.p2align	6, 0x0
	.amdhsa_kernel _ZN2at6native32elementwise_kernel_manual_unrollILi128ELi4EZNS0_22gpu_kernel_impl_nocastIZZZNS0_12_GLOBAL__N_124renorm_scale_factor_implERNS_18TensorIteratorBaseEdENKUlvE_clEvENKUlvE0_clEvEUlfE_EEvS5_RKT_EUlibE_EEviT1_
		.amdhsa_group_segment_fixed_size 0
		.amdhsa_private_segment_fixed_size 0
		.amdhsa_kernarg_size 360
		.amdhsa_user_sgpr_count 2
		.amdhsa_user_sgpr_dispatch_ptr 0
		.amdhsa_user_sgpr_queue_ptr 0
		.amdhsa_user_sgpr_kernarg_segment_ptr 1
		.amdhsa_user_sgpr_dispatch_id 0
		.amdhsa_user_sgpr_kernarg_preload_length 0
		.amdhsa_user_sgpr_kernarg_preload_offset 0
		.amdhsa_user_sgpr_private_segment_size 0
		.amdhsa_wavefront_size32 1
		.amdhsa_uses_dynamic_stack 0
		.amdhsa_enable_private_segment 0
		.amdhsa_system_sgpr_workgroup_id_x 1
		.amdhsa_system_sgpr_workgroup_id_y 0
		.amdhsa_system_sgpr_workgroup_id_z 0
		.amdhsa_system_sgpr_workgroup_info 0
		.amdhsa_system_vgpr_workitem_id 0
		.amdhsa_next_free_vgpr 15
		.amdhsa_next_free_sgpr 60
		.amdhsa_named_barrier_count 0
		.amdhsa_reserve_vcc 1
		.amdhsa_float_round_mode_32 0
		.amdhsa_float_round_mode_16_64 0
		.amdhsa_float_denorm_mode_32 3
		.amdhsa_float_denorm_mode_16_64 3
		.amdhsa_fp16_overflow 0
		.amdhsa_memory_ordered 1
		.amdhsa_forward_progress 1
		.amdhsa_inst_pref_size 57
		.amdhsa_round_robin_scheduling 0
		.amdhsa_exception_fp_ieee_invalid_op 0
		.amdhsa_exception_fp_denorm_src 0
		.amdhsa_exception_fp_ieee_div_zero 0
		.amdhsa_exception_fp_ieee_overflow 0
		.amdhsa_exception_fp_ieee_underflow 0
		.amdhsa_exception_fp_ieee_inexact 0
		.amdhsa_exception_int_div_zero 0
	.end_amdhsa_kernel
	.section	.text._ZN2at6native32elementwise_kernel_manual_unrollILi128ELi4EZNS0_22gpu_kernel_impl_nocastIZZZNS0_12_GLOBAL__N_124renorm_scale_factor_implERNS_18TensorIteratorBaseEdENKUlvE_clEvENKUlvE0_clEvEUlfE_EEvS5_RKT_EUlibE_EEviT1_,"axG",@progbits,_ZN2at6native32elementwise_kernel_manual_unrollILi128ELi4EZNS0_22gpu_kernel_impl_nocastIZZZNS0_12_GLOBAL__N_124renorm_scale_factor_implERNS_18TensorIteratorBaseEdENKUlvE_clEvENKUlvE0_clEvEUlfE_EEvS5_RKT_EUlibE_EEviT1_,comdat
.Lfunc_end13:
	.size	_ZN2at6native32elementwise_kernel_manual_unrollILi128ELi4EZNS0_22gpu_kernel_impl_nocastIZZZNS0_12_GLOBAL__N_124renorm_scale_factor_implERNS_18TensorIteratorBaseEdENKUlvE_clEvENKUlvE0_clEvEUlfE_EEvS5_RKT_EUlibE_EEviT1_, .Lfunc_end13-_ZN2at6native32elementwise_kernel_manual_unrollILi128ELi4EZNS0_22gpu_kernel_impl_nocastIZZZNS0_12_GLOBAL__N_124renorm_scale_factor_implERNS_18TensorIteratorBaseEdENKUlvE_clEvENKUlvE0_clEvEUlfE_EEvS5_RKT_EUlibE_EEviT1_
                                        ; -- End function
	.set _ZN2at6native32elementwise_kernel_manual_unrollILi128ELi4EZNS0_22gpu_kernel_impl_nocastIZZZNS0_12_GLOBAL__N_124renorm_scale_factor_implERNS_18TensorIteratorBaseEdENKUlvE_clEvENKUlvE0_clEvEUlfE_EEvS5_RKT_EUlibE_EEviT1_.num_vgpr, 15
	.set _ZN2at6native32elementwise_kernel_manual_unrollILi128ELi4EZNS0_22gpu_kernel_impl_nocastIZZZNS0_12_GLOBAL__N_124renorm_scale_factor_implERNS_18TensorIteratorBaseEdENKUlvE_clEvENKUlvE0_clEvEUlfE_EEvS5_RKT_EUlibE_EEviT1_.num_agpr, 0
	.set _ZN2at6native32elementwise_kernel_manual_unrollILi128ELi4EZNS0_22gpu_kernel_impl_nocastIZZZNS0_12_GLOBAL__N_124renorm_scale_factor_implERNS_18TensorIteratorBaseEdENKUlvE_clEvENKUlvE0_clEvEUlfE_EEvS5_RKT_EUlibE_EEviT1_.numbered_sgpr, 60
	.set _ZN2at6native32elementwise_kernel_manual_unrollILi128ELi4EZNS0_22gpu_kernel_impl_nocastIZZZNS0_12_GLOBAL__N_124renorm_scale_factor_implERNS_18TensorIteratorBaseEdENKUlvE_clEvENKUlvE0_clEvEUlfE_EEvS5_RKT_EUlibE_EEviT1_.num_named_barrier, 0
	.set _ZN2at6native32elementwise_kernel_manual_unrollILi128ELi4EZNS0_22gpu_kernel_impl_nocastIZZZNS0_12_GLOBAL__N_124renorm_scale_factor_implERNS_18TensorIteratorBaseEdENKUlvE_clEvENKUlvE0_clEvEUlfE_EEvS5_RKT_EUlibE_EEviT1_.private_seg_size, 0
	.set _ZN2at6native32elementwise_kernel_manual_unrollILi128ELi4EZNS0_22gpu_kernel_impl_nocastIZZZNS0_12_GLOBAL__N_124renorm_scale_factor_implERNS_18TensorIteratorBaseEdENKUlvE_clEvENKUlvE0_clEvEUlfE_EEvS5_RKT_EUlibE_EEviT1_.uses_vcc, 1
	.set _ZN2at6native32elementwise_kernel_manual_unrollILi128ELi4EZNS0_22gpu_kernel_impl_nocastIZZZNS0_12_GLOBAL__N_124renorm_scale_factor_implERNS_18TensorIteratorBaseEdENKUlvE_clEvENKUlvE0_clEvEUlfE_EEvS5_RKT_EUlibE_EEviT1_.uses_flat_scratch, 0
	.set _ZN2at6native32elementwise_kernel_manual_unrollILi128ELi4EZNS0_22gpu_kernel_impl_nocastIZZZNS0_12_GLOBAL__N_124renorm_scale_factor_implERNS_18TensorIteratorBaseEdENKUlvE_clEvENKUlvE0_clEvEUlfE_EEvS5_RKT_EUlibE_EEviT1_.has_dyn_sized_stack, 0
	.set _ZN2at6native32elementwise_kernel_manual_unrollILi128ELi4EZNS0_22gpu_kernel_impl_nocastIZZZNS0_12_GLOBAL__N_124renorm_scale_factor_implERNS_18TensorIteratorBaseEdENKUlvE_clEvENKUlvE0_clEvEUlfE_EEvS5_RKT_EUlibE_EEviT1_.has_recursion, 0
	.set _ZN2at6native32elementwise_kernel_manual_unrollILi128ELi4EZNS0_22gpu_kernel_impl_nocastIZZZNS0_12_GLOBAL__N_124renorm_scale_factor_implERNS_18TensorIteratorBaseEdENKUlvE_clEvENKUlvE0_clEvEUlfE_EEvS5_RKT_EUlibE_EEviT1_.has_indirect_call, 0
	.section	.AMDGPU.csdata,"",@progbits
; Kernel info:
; codeLenInByte = 7276
; TotalNumSgprs: 62
; NumVgprs: 15
; ScratchSize: 0
; MemoryBound: 0
; FloatMode: 240
; IeeeMode: 1
; LDSByteSize: 0 bytes/workgroup (compile time only)
; SGPRBlocks: 0
; VGPRBlocks: 0
; NumSGPRsForWavesPerEU: 62
; NumVGPRsForWavesPerEU: 15
; NamedBarCnt: 0
; Occupancy: 16
; WaveLimiterHint : 1
; COMPUTE_PGM_RSRC2:SCRATCH_EN: 0
; COMPUTE_PGM_RSRC2:USER_SGPR: 2
; COMPUTE_PGM_RSRC2:TRAP_HANDLER: 0
; COMPUTE_PGM_RSRC2:TGID_X_EN: 1
; COMPUTE_PGM_RSRC2:TGID_Y_EN: 0
; COMPUTE_PGM_RSRC2:TGID_Z_EN: 0
; COMPUTE_PGM_RSRC2:TIDIG_COMP_CNT: 0
	.section	.text._ZN2at6native32elementwise_kernel_manual_unrollILi128ELi4EZNS0_15gpu_kernel_implIZZZNS0_12_GLOBAL__N_124renorm_scale_factor_implERNS_18TensorIteratorBaseEdENKUlvE_clEvENKUlvE0_clEvEUlfE_EEvS5_RKT_EUlibE_EEviT1_,"axG",@progbits,_ZN2at6native32elementwise_kernel_manual_unrollILi128ELi4EZNS0_15gpu_kernel_implIZZZNS0_12_GLOBAL__N_124renorm_scale_factor_implERNS_18TensorIteratorBaseEdENKUlvE_clEvENKUlvE0_clEvEUlfE_EEvS5_RKT_EUlibE_EEviT1_,comdat
	.globl	_ZN2at6native32elementwise_kernel_manual_unrollILi128ELi4EZNS0_15gpu_kernel_implIZZZNS0_12_GLOBAL__N_124renorm_scale_factor_implERNS_18TensorIteratorBaseEdENKUlvE_clEvENKUlvE0_clEvEUlfE_EEvS5_RKT_EUlibE_EEviT1_ ; -- Begin function _ZN2at6native32elementwise_kernel_manual_unrollILi128ELi4EZNS0_15gpu_kernel_implIZZZNS0_12_GLOBAL__N_124renorm_scale_factor_implERNS_18TensorIteratorBaseEdENKUlvE_clEvENKUlvE0_clEvEUlfE_EEvS5_RKT_EUlibE_EEviT1_
	.p2align	8
	.type	_ZN2at6native32elementwise_kernel_manual_unrollILi128ELi4EZNS0_15gpu_kernel_implIZZZNS0_12_GLOBAL__N_124renorm_scale_factor_implERNS_18TensorIteratorBaseEdENKUlvE_clEvENKUlvE0_clEvEUlfE_EEvS5_RKT_EUlibE_EEviT1_,@function
_ZN2at6native32elementwise_kernel_manual_unrollILi128ELi4EZNS0_15gpu_kernel_implIZZZNS0_12_GLOBAL__N_124renorm_scale_factor_implERNS_18TensorIteratorBaseEdENKUlvE_clEvENKUlvE0_clEvEUlfE_EEvS5_RKT_EUlibE_EEviT1_: ; @_ZN2at6native32elementwise_kernel_manual_unrollILi128ELi4EZNS0_15gpu_kernel_implIZZZNS0_12_GLOBAL__N_124renorm_scale_factor_implERNS_18TensorIteratorBaseEdENKUlvE_clEvENKUlvE0_clEvEUlfE_EEvS5_RKT_EUlibE_EEviT1_
; %bb.0:
	s_load_b256 s[4:11], s[0:1], 0x8
	s_bfe_u32 s2, ttmp6, 0x4000c
	s_load_b32 s13, s[0:1], 0x0
	s_add_co_i32 s2, s2, 1
	s_and_b32 s3, ttmp6, 15
	s_wait_xcnt 0x0
	s_mul_i32 s1, ttmp9, s2
	s_getreg_b32 s0, hwreg(HW_REG_IB_STS2, 6, 4)
	s_add_co_i32 s3, s3, s1
	s_mov_b32 s1, 0
	s_mov_b32 s12, 0
	s_wait_kmcnt 0x0
	s_bfe_u32 s2, s11, 0x80008
	s_cmp_eq_u32 s0, 0
	s_cselect_b32 s0, ttmp9, s3
	s_delay_alu instid0(SALU_CYCLE_1) | instskip(SKIP_1) | instid1(VALU_DEP_1)
	v_lshl_or_b32 v8, s0, 9, v0
	s_mov_b32 s0, exec_lo
	v_or_b32_e32 v0, 0x180, v8
	s_delay_alu instid0(VALU_DEP_1)
	v_cmpx_le_i32_e64 s13, v0
	s_xor_b32 s3, exec_lo, s0
	s_cbranch_execz .LBB14_1039
; %bb.1:
	s_mov_b32 s18, -1
	s_mov_b32 s16, 0
	s_mov_b32 s14, 0
	s_mov_b32 s15, exec_lo
	v_cmpx_gt_i32_e64 s13, v8
	s_cbranch_execz .LBB14_254
; %bb.2:
	v_mul_lo_u32 v0, v8, s9
	s_and_b32 s0, 0xffff, s2
	s_delay_alu instid0(SALU_CYCLE_1) | instskip(NEXT) | instid1(VALU_DEP_1)
	s_cmp_lt_i32 s0, 11
	v_ashrrev_i32_e32 v1, 31, v0
	s_delay_alu instid0(VALU_DEP_1)
	v_add_nc_u64_e32 v[0:1], s[6:7], v[0:1]
	s_cbranch_scc1 .LBB14_9
; %bb.3:
	s_cmp_gt_i32 s0, 25
	s_cbranch_scc0 .LBB14_20
; %bb.4:
	s_cmp_gt_i32 s0, 28
	s_cbranch_scc0 .LBB14_23
	;; [unrolled: 3-line block ×4, first 2 shown]
; %bb.7:
	s_cmp_eq_u32 s0, 46
	s_mov_b32 s17, 0
	s_cbranch_scc0 .LBB14_29
; %bb.8:
	global_load_b32 v2, v[0:1], off
	s_mov_b32 s12, -1
	s_wait_loadcnt 0x0
	v_lshlrev_b32_e32 v2, 16, v2
	s_branch .LBB14_31
.LBB14_9:
                                        ; implicit-def: $vgpr2
	s_cbranch_execnz .LBB14_204
.LBB14_10:
	s_and_not1_b32 vcc_lo, exec_lo, s12
	s_cbranch_vccnz .LBB14_251
.LBB14_11:
	s_wait_xcnt 0x0
	v_mov_b32_e32 v0, 1.0
	s_mov_b32 s0, exec_lo
	s_wait_loadcnt 0x0
	s_delay_alu instid0(VALU_DEP_2)
	v_cmpx_lt_f32_e32 s10, v2
	s_cbranch_execz .LBB14_13
; %bb.12:
	v_add_f32_e32 v0, 0x33d6bf95, v2
	s_delay_alu instid0(VALU_DEP_1) | instskip(NEXT) | instid1(VALU_DEP_1)
	v_div_scale_f32 v1, null, v0, v0, s10
	v_rcp_f32_e32 v2, v1
	v_nop
	s_delay_alu instid0(TRANS32_DEP_1) | instskip(NEXT) | instid1(VALU_DEP_1)
	v_fma_f32 v3, -v1, v2, 1.0
	v_fmac_f32_e32 v2, v3, v2
	v_div_scale_f32 v3, vcc_lo, s10, v0, s10
	s_delay_alu instid0(VALU_DEP_1) | instskip(NEXT) | instid1(VALU_DEP_1)
	v_mul_f32_e32 v4, v3, v2
	v_fma_f32 v5, -v1, v4, v3
	s_delay_alu instid0(VALU_DEP_1) | instskip(NEXT) | instid1(VALU_DEP_1)
	v_fmac_f32_e32 v4, v5, v2
	v_fma_f32 v1, -v1, v4, v3
	s_delay_alu instid0(VALU_DEP_1) | instskip(NEXT) | instid1(VALU_DEP_1)
	v_div_fmas_f32 v1, v1, v2, v4
	v_div_fixup_f32 v0, v1, v0, s10
.LBB14_13:
	s_or_b32 exec_lo, exec_lo, s0
	v_mul_lo_u32 v2, v8, s8
	s_and_b32 s12, s11, 0xff
	s_delay_alu instid0(SALU_CYCLE_1) | instskip(NEXT) | instid1(VALU_DEP_1)
	s_cmp_lt_i32 s12, 11
	v_ashrrev_i32_e32 v3, 31, v2
	s_delay_alu instid0(VALU_DEP_1)
	v_add_nc_u64_e32 v[2:3], s[4:5], v[2:3]
	s_cbranch_scc1 .LBB14_21
; %bb.14:
	s_and_b32 s17, 0xffff, s12
	s_delay_alu instid0(SALU_CYCLE_1)
	s_cmp_gt_i32 s17, 25
	s_cbranch_scc0 .LBB14_24
; %bb.15:
	s_cmp_gt_i32 s17, 28
	s_cbranch_scc0 .LBB14_26
; %bb.16:
	;; [unrolled: 3-line block ×4, first 2 shown]
	s_mov_b32 s19, 0
	s_mov_b32 s0, -1
	s_cmp_eq_u32 s17, 46
	s_mov_b32 s18, 0
	s_cbranch_scc0 .LBB14_35
; %bb.19:
	v_bfe_u32 v1, v0, 16, 1
	v_cmp_o_f32_e32 vcc_lo, v0, v0
	s_mov_b32 s18, -1
	s_mov_b32 s0, 0
	s_delay_alu instid0(VALU_DEP_2) | instskip(NEXT) | instid1(VALU_DEP_1)
	v_add3_u32 v1, v0, v1, 0x7fff
	v_lshrrev_b32_e32 v1, 16, v1
	s_delay_alu instid0(VALU_DEP_1)
	v_cndmask_b32_e32 v1, 0x7fc0, v1, vcc_lo
	global_store_b32 v[2:3], v1, off
	s_branch .LBB14_35
.LBB14_20:
                                        ; implicit-def: $vgpr2
	s_cbranch_execnz .LBB14_169
	s_branch .LBB14_203
.LBB14_21:
	s_mov_b32 s0, 0
	s_mov_b32 s18, 0
	s_cbranch_execnz .LBB14_104
.LBB14_22:
	s_and_not1_b32 vcc_lo, exec_lo, s18
	s_cbranch_vccnz .LBB14_252
	s_branch .LBB14_142
.LBB14_23:
	s_mov_b32 s17, -1
                                        ; implicit-def: $vgpr2
	s_branch .LBB14_150
.LBB14_24:
	s_mov_b32 s19, -1
	s_mov_b32 s0, 0
	s_mov_b32 s18, 0
	s_branch .LBB14_62
.LBB14_25:
	s_mov_b32 s17, -1
                                        ; implicit-def: $vgpr2
	s_branch .LBB14_145
.LBB14_26:
	s_mov_b32 s19, -1
	s_mov_b32 s0, 0
	s_mov_b32 s18, 0
	s_branch .LBB14_45
.LBB14_27:
	s_mov_b32 s17, -1
	s_branch .LBB14_30
.LBB14_28:
	s_mov_b32 s19, -1
	s_mov_b32 s0, 0
	s_mov_b32 s18, 0
	s_branch .LBB14_41
.LBB14_29:
	s_mov_b32 s14, -1
.LBB14_30:
                                        ; implicit-def: $vgpr2
.LBB14_31:
	s_and_b32 vcc_lo, exec_lo, s17
	s_cbranch_vccz .LBB14_144
; %bb.32:
	s_cmp_eq_u32 s0, 44
	s_cbranch_scc0 .LBB14_143
; %bb.33:
	global_load_u8 v2, v[0:1], off
	s_mov_b32 s14, 0
	s_mov_b32 s12, -1
	s_wait_loadcnt 0x0
	v_lshlrev_b32_e32 v3, 23, v2
	v_cmp_ne_u32_e32 vcc_lo, 0xff, v2
	s_delay_alu instid0(VALU_DEP_2) | instskip(SKIP_1) | instid1(VALU_DEP_2)
	v_cndmask_b32_e32 v3, 0x7f800001, v3, vcc_lo
	v_cmp_ne_u32_e32 vcc_lo, 0, v2
	v_cndmask_b32_e32 v2, 0x400000, v3, vcc_lo
	s_branch .LBB14_144
.LBB14_34:
	s_mov_b32 s19, -1
	s_mov_b32 s0, 0
	s_mov_b32 s18, 0
.LBB14_35:
	s_and_b32 vcc_lo, exec_lo, s19
	s_cbranch_vccz .LBB14_40
; %bb.36:
	s_cmp_eq_u32 s17, 44
	s_mov_b32 s0, -1
	s_cbranch_scc0 .LBB14_40
; %bb.37:
	v_bfe_u32 v4, v0, 23, 8
	s_wait_xcnt 0x0
	v_mov_b32_e32 v1, 0xff
	s_mov_b32 s18, exec_lo
	s_delay_alu instid0(VALU_DEP_2)
	v_cmpx_ne_u32_e32 0xff, v4
	s_cbranch_execz .LBB14_39
; %bb.38:
	v_and_b32_e32 v1, 0x400000, v0
	v_and_or_b32 v4, 0x3fffff, v0, v4
	s_delay_alu instid0(VALU_DEP_2) | instskip(NEXT) | instid1(VALU_DEP_2)
	v_cmp_ne_u32_e32 vcc_lo, 0, v1
	v_cmp_ne_u32_e64 s0, 0, v4
	v_lshrrev_b32_e32 v1, 23, v0
	s_and_b32 s0, vcc_lo, s0
	s_delay_alu instid0(SALU_CYCLE_1) | instskip(NEXT) | instid1(VALU_DEP_1)
	v_cndmask_b32_e64 v4, 0, 1, s0
	v_add_nc_u32_e32 v1, v1, v4
.LBB14_39:
	s_or_b32 exec_lo, exec_lo, s18
	s_mov_b32 s18, -1
	s_mov_b32 s0, 0
	global_store_b8 v[2:3], v1, off
.LBB14_40:
	s_mov_b32 s19, 0
.LBB14_41:
	s_delay_alu instid0(SALU_CYCLE_1)
	s_and_b32 vcc_lo, exec_lo, s19
	s_cbranch_vccz .LBB14_44
; %bb.42:
	s_cmp_eq_u32 s17, 29
	s_mov_b32 s0, -1
	s_cbranch_scc0 .LBB14_44
; %bb.43:
	s_wait_xcnt 0x0
	v_trunc_f32_e32 v1, v0
	s_mov_b32 s18, -1
	s_mov_b32 s0, 0
	s_mov_b32 s19, 0
	s_delay_alu instid0(VALU_DEP_1) | instskip(NEXT) | instid1(VALU_DEP_1)
	v_mul_f32_e32 v4, 0x2f800000, v1
	v_floor_f32_e32 v4, v4
	s_delay_alu instid0(VALU_DEP_1) | instskip(SKIP_1) | instid1(VALU_DEP_2)
	v_fmamk_f32 v1, v4, 0xcf800000, v1
	v_cvt_u32_f32_e32 v5, v4
	v_cvt_u32_f32_e32 v4, v1
	global_store_b64 v[2:3], v[4:5], off
	s_branch .LBB14_45
.LBB14_44:
	s_mov_b32 s19, 0
.LBB14_45:
	s_delay_alu instid0(SALU_CYCLE_1)
	s_and_b32 vcc_lo, exec_lo, s19
	s_cbranch_vccz .LBB14_61
; %bb.46:
	s_cmp_lt_i32 s17, 27
	s_mov_b32 s18, -1
	s_cbranch_scc1 .LBB14_52
; %bb.47:
	s_wait_xcnt 0x0
	v_cvt_u32_f32_e32 v1, v0
	s_cmp_gt_i32 s17, 27
	s_cbranch_scc0 .LBB14_49
; %bb.48:
	s_mov_b32 s18, 0
	global_store_b32 v[2:3], v1, off
.LBB14_49:
	s_and_not1_b32 vcc_lo, exec_lo, s18
	s_cbranch_vccnz .LBB14_51
; %bb.50:
	global_store_b16 v[2:3], v1, off
.LBB14_51:
	s_mov_b32 s18, 0
.LBB14_52:
	s_delay_alu instid0(SALU_CYCLE_1)
	s_and_not1_b32 vcc_lo, exec_lo, s18
	s_cbranch_vccnz .LBB14_60
; %bb.53:
	s_wait_xcnt 0x0
	v_and_b32_e32 v1, 0x7fffffff, v0
	v_mov_b32_e32 v4, 0x80
	s_mov_b32 s18, exec_lo
	s_delay_alu instid0(VALU_DEP_2)
	v_cmpx_gt_u32_e32 0x43800000, v1
	s_cbranch_execz .LBB14_59
; %bb.54:
	v_cmp_lt_u32_e32 vcc_lo, 0x3bffffff, v1
	s_mov_b32 s19, 0
                                        ; implicit-def: $vgpr1
	s_and_saveexec_b32 s20, vcc_lo
	s_delay_alu instid0(SALU_CYCLE_1)
	s_xor_b32 s20, exec_lo, s20
	s_cbranch_execz .LBB14_283
; %bb.55:
	v_bfe_u32 v1, v0, 20, 1
	s_mov_b32 s19, exec_lo
	s_delay_alu instid0(VALU_DEP_1) | instskip(NEXT) | instid1(VALU_DEP_1)
	v_add3_u32 v1, v0, v1, 0x487ffff
	v_lshrrev_b32_e32 v1, 20, v1
	s_and_not1_saveexec_b32 s20, s20
	s_cbranch_execnz .LBB14_284
.LBB14_56:
	s_or_b32 exec_lo, exec_lo, s20
	v_mov_b32_e32 v4, 0
	s_and_saveexec_b32 s20, s19
.LBB14_57:
	v_lshrrev_b32_e32 v4, 24, v0
	s_delay_alu instid0(VALU_DEP_1)
	v_and_or_b32 v4, 0x80, v4, v1
.LBB14_58:
	s_or_b32 exec_lo, exec_lo, s20
.LBB14_59:
	s_delay_alu instid0(SALU_CYCLE_1)
	s_or_b32 exec_lo, exec_lo, s18
	global_store_b8 v[2:3], v4, off
.LBB14_60:
	s_mov_b32 s18, -1
.LBB14_61:
	s_mov_b32 s19, 0
.LBB14_62:
	s_delay_alu instid0(SALU_CYCLE_1)
	s_and_b32 vcc_lo, exec_lo, s19
	s_cbranch_vccz .LBB14_103
; %bb.63:
	s_cmp_gt_i32 s17, 22
	s_mov_b32 s19, -1
	s_cbranch_scc0 .LBB14_95
; %bb.64:
	s_cmp_lt_i32 s17, 24
	s_mov_b32 s18, -1
	s_cbranch_scc1 .LBB14_84
; %bb.65:
	s_cmp_gt_i32 s17, 24
	s_cbranch_scc0 .LBB14_73
; %bb.66:
	s_wait_xcnt 0x0
	v_and_b32_e32 v1, 0x7fffffff, v0
	v_mov_b32_e32 v4, 0x80
	s_mov_b32 s18, exec_lo
	s_delay_alu instid0(VALU_DEP_2)
	v_cmpx_gt_u32_e32 0x47800000, v1
	s_cbranch_execz .LBB14_72
; %bb.67:
	v_cmp_lt_u32_e32 vcc_lo, 0x37ffffff, v1
	s_mov_b32 s19, 0
                                        ; implicit-def: $vgpr1
	s_and_saveexec_b32 s20, vcc_lo
	s_delay_alu instid0(SALU_CYCLE_1)
	s_xor_b32 s20, exec_lo, s20
	s_cbranch_execz .LBB14_287
; %bb.68:
	v_bfe_u32 v1, v0, 21, 1
	s_mov_b32 s19, exec_lo
	s_delay_alu instid0(VALU_DEP_1) | instskip(NEXT) | instid1(VALU_DEP_1)
	v_add3_u32 v1, v0, v1, 0x88fffff
	v_lshrrev_b32_e32 v1, 21, v1
	s_and_not1_saveexec_b32 s20, s20
	s_cbranch_execnz .LBB14_288
.LBB14_69:
	s_or_b32 exec_lo, exec_lo, s20
	v_mov_b32_e32 v4, 0
	s_and_saveexec_b32 s20, s19
.LBB14_70:
	v_lshrrev_b32_e32 v4, 24, v0
	s_delay_alu instid0(VALU_DEP_1)
	v_and_or_b32 v4, 0x80, v4, v1
.LBB14_71:
	s_or_b32 exec_lo, exec_lo, s20
.LBB14_72:
	s_delay_alu instid0(SALU_CYCLE_1)
	s_or_b32 exec_lo, exec_lo, s18
	s_mov_b32 s18, 0
	global_store_b8 v[2:3], v4, off
.LBB14_73:
	s_and_b32 vcc_lo, exec_lo, s18
	s_cbranch_vccz .LBB14_83
; %bb.74:
	s_wait_xcnt 0x0
	v_and_b32_e32 v4, 0x7fffffff, v0
	s_mov_b32 s18, exec_lo
                                        ; implicit-def: $vgpr1
	s_delay_alu instid0(VALU_DEP_1)
	v_cmpx_gt_u32_e32 0x43f00000, v4
	s_xor_b32 s18, exec_lo, s18
	s_cbranch_execz .LBB14_80
; %bb.75:
	s_mov_b32 s19, exec_lo
                                        ; implicit-def: $vgpr1
	v_cmpx_lt_u32_e32 0x3c7fffff, v4
	s_xor_b32 s19, exec_lo, s19
; %bb.76:
	v_bfe_u32 v1, v0, 20, 1
	s_delay_alu instid0(VALU_DEP_1) | instskip(NEXT) | instid1(VALU_DEP_1)
	v_add3_u32 v1, v0, v1, 0x407ffff
	v_and_b32_e32 v4, 0xff00000, v1
	v_lshrrev_b32_e32 v1, 20, v1
	s_delay_alu instid0(VALU_DEP_2) | instskip(NEXT) | instid1(VALU_DEP_2)
	v_cmp_ne_u32_e32 vcc_lo, 0x7f00000, v4
	v_cndmask_b32_e32 v1, 0x7e, v1, vcc_lo
; %bb.77:
	s_and_not1_saveexec_b32 s19, s19
; %bb.78:
	v_add_f32_e64 v1, 0x46800000, |v0|
; %bb.79:
	s_or_b32 exec_lo, exec_lo, s19
                                        ; implicit-def: $vgpr4
.LBB14_80:
	s_and_not1_saveexec_b32 s18, s18
; %bb.81:
	v_mov_b32_e32 v1, 0x7f
	v_cmp_lt_u32_e32 vcc_lo, 0x7f800000, v4
	s_delay_alu instid0(VALU_DEP_2)
	v_cndmask_b32_e32 v1, 0x7e, v1, vcc_lo
; %bb.82:
	s_or_b32 exec_lo, exec_lo, s18
	v_lshrrev_b32_e32 v4, 24, v0
	s_delay_alu instid0(VALU_DEP_1)
	v_and_or_b32 v1, 0x80, v4, v1
	global_store_b8 v[2:3], v1, off
.LBB14_83:
	s_mov_b32 s18, 0
.LBB14_84:
	s_delay_alu instid0(SALU_CYCLE_1)
	s_and_not1_b32 vcc_lo, exec_lo, s18
	s_cbranch_vccnz .LBB14_94
; %bb.85:
	s_wait_xcnt 0x0
	v_and_b32_e32 v4, 0x7fffffff, v0
	s_mov_b32 s18, exec_lo
                                        ; implicit-def: $vgpr1
	s_delay_alu instid0(VALU_DEP_1)
	v_cmpx_gt_u32_e32 0x47800000, v4
	s_xor_b32 s18, exec_lo, s18
	s_cbranch_execz .LBB14_91
; %bb.86:
	s_mov_b32 s19, exec_lo
                                        ; implicit-def: $vgpr1
	v_cmpx_lt_u32_e32 0x387fffff, v4
	s_xor_b32 s19, exec_lo, s19
; %bb.87:
	v_bfe_u32 v1, v0, 21, 1
	s_delay_alu instid0(VALU_DEP_1) | instskip(NEXT) | instid1(VALU_DEP_1)
	v_add3_u32 v1, v0, v1, 0x80fffff
	v_lshrrev_b32_e32 v1, 21, v1
; %bb.88:
	s_and_not1_saveexec_b32 s19, s19
; %bb.89:
	v_add_f32_e64 v1, 0x43000000, |v0|
; %bb.90:
	s_or_b32 exec_lo, exec_lo, s19
                                        ; implicit-def: $vgpr4
.LBB14_91:
	s_and_not1_saveexec_b32 s18, s18
; %bb.92:
	v_mov_b32_e32 v1, 0x7f
	v_cmp_lt_u32_e32 vcc_lo, 0x7f800000, v4
	s_delay_alu instid0(VALU_DEP_2)
	v_cndmask_b32_e32 v1, 0x7c, v1, vcc_lo
; %bb.93:
	s_or_b32 exec_lo, exec_lo, s18
	v_lshrrev_b32_e32 v4, 24, v0
	s_delay_alu instid0(VALU_DEP_1)
	v_and_or_b32 v1, 0x80, v4, v1
	global_store_b8 v[2:3], v1, off
.LBB14_94:
	s_mov_b32 s19, 0
	s_mov_b32 s18, -1
.LBB14_95:
	s_and_not1_b32 vcc_lo, exec_lo, s19
	s_cbranch_vccnz .LBB14_103
; %bb.96:
	s_cmp_gt_i32 s17, 14
	s_mov_b32 s19, -1
	s_cbranch_scc0 .LBB14_100
; %bb.97:
	s_cmp_eq_u32 s17, 15
	s_mov_b32 s0, -1
	s_cbranch_scc0 .LBB14_99
; %bb.98:
	s_wait_xcnt 0x0
	v_bfe_u32 v1, v0, 16, 1
	v_cmp_o_f32_e32 vcc_lo, v0, v0
	s_mov_b32 s18, -1
	s_mov_b32 s0, 0
	s_delay_alu instid0(VALU_DEP_2) | instskip(NEXT) | instid1(VALU_DEP_1)
	v_add3_u32 v1, v0, v1, 0x7fff
	v_lshrrev_b32_e32 v1, 16, v1
	s_delay_alu instid0(VALU_DEP_1)
	v_cndmask_b32_e32 v1, 0x7fc0, v1, vcc_lo
	global_store_b16 v[2:3], v1, off
.LBB14_99:
	s_mov_b32 s19, 0
.LBB14_100:
	s_delay_alu instid0(SALU_CYCLE_1)
	s_and_b32 vcc_lo, exec_lo, s19
	s_cbranch_vccz .LBB14_103
; %bb.101:
	s_cmp_eq_u32 s17, 11
	s_mov_b32 s0, -1
	s_cbranch_scc0 .LBB14_103
; %bb.102:
	v_cmp_neq_f32_e32 vcc_lo, 0, v0
	s_mov_b32 s0, 0
	s_mov_b32 s18, -1
	s_wait_xcnt 0x0
	v_cndmask_b32_e64 v1, 0, 1, vcc_lo
	global_store_b8 v[2:3], v1, off
.LBB14_103:
	s_branch .LBB14_22
.LBB14_104:
	s_and_b32 s12, 0xffff, s12
	s_mov_b32 s17, -1
	s_cmp_lt_i32 s12, 5
	s_cbranch_scc1 .LBB14_125
; %bb.105:
	s_cmp_lt_i32 s12, 8
	s_cbranch_scc1 .LBB14_115
; %bb.106:
	;; [unrolled: 3-line block ×3, first 2 shown]
	s_cmp_gt_i32 s12, 9
	s_cbranch_scc0 .LBB14_109
; %bb.108:
	s_wait_xcnt 0x0
	v_cvt_f64_f32_e32 v[4:5], v0
	v_mov_b32_e32 v6, 0
	s_mov_b32 s17, 0
	s_delay_alu instid0(VALU_DEP_1)
	v_mov_b32_e32 v7, v6
	global_store_b128 v[2:3], v[4:7], off
.LBB14_109:
	s_and_not1_b32 vcc_lo, exec_lo, s17
	s_cbranch_vccnz .LBB14_111
; %bb.110:
	s_wait_xcnt 0x0
	v_mov_b32_e32 v1, 0
	global_store_b64 v[2:3], v[0:1], off
.LBB14_111:
	s_mov_b32 s17, 0
.LBB14_112:
	s_delay_alu instid0(SALU_CYCLE_1)
	s_and_not1_b32 vcc_lo, exec_lo, s17
	s_cbranch_vccnz .LBB14_114
; %bb.113:
	s_wait_xcnt 0x0
	v_cvt_f16_f32_e32 v1, v0
	s_delay_alu instid0(VALU_DEP_1)
	v_and_b32_e32 v1, 0xffff, v1
	global_store_b32 v[2:3], v1, off
.LBB14_114:
	s_mov_b32 s17, 0
.LBB14_115:
	s_delay_alu instid0(SALU_CYCLE_1)
	s_and_not1_b32 vcc_lo, exec_lo, s17
	s_cbranch_vccnz .LBB14_124
; %bb.116:
	s_cmp_lt_i32 s12, 6
	s_mov_b32 s17, -1
	s_cbranch_scc1 .LBB14_122
; %bb.117:
	s_cmp_gt_i32 s12, 6
	s_cbranch_scc0 .LBB14_119
; %bb.118:
	s_wait_xcnt 0x0
	v_cvt_f64_f32_e32 v[4:5], v0
	s_mov_b32 s17, 0
	global_store_b64 v[2:3], v[4:5], off
.LBB14_119:
	s_and_not1_b32 vcc_lo, exec_lo, s17
	s_cbranch_vccnz .LBB14_121
; %bb.120:
	global_store_b32 v[2:3], v0, off
.LBB14_121:
	s_mov_b32 s17, 0
.LBB14_122:
	s_delay_alu instid0(SALU_CYCLE_1)
	s_and_not1_b32 vcc_lo, exec_lo, s17
	s_cbranch_vccnz .LBB14_124
; %bb.123:
	s_wait_xcnt 0x0
	v_cvt_f16_f32_e32 v1, v0
	global_store_b16 v[2:3], v1, off
.LBB14_124:
	s_mov_b32 s17, 0
.LBB14_125:
	s_delay_alu instid0(SALU_CYCLE_1)
	s_and_not1_b32 vcc_lo, exec_lo, s17
	s_cbranch_vccnz .LBB14_141
; %bb.126:
	s_cmp_lt_i32 s12, 2
	s_mov_b32 s17, -1
	s_cbranch_scc1 .LBB14_136
; %bb.127:
	s_cmp_lt_i32 s12, 3
	s_cbranch_scc1 .LBB14_133
; %bb.128:
	s_cmp_gt_i32 s12, 3
	s_cbranch_scc0 .LBB14_130
; %bb.129:
	s_wait_xcnt 0x0
	v_trunc_f32_e32 v1, v0
	s_mov_b32 s17, 0
	s_delay_alu instid0(VALU_DEP_1) | instskip(NEXT) | instid1(VALU_DEP_1)
	v_mul_f32_e64 v4, 0x2f800000, |v1|
	v_floor_f32_e32 v5, v4
	v_ashrrev_i32_e32 v4, 31, v1
	s_delay_alu instid0(VALU_DEP_2) | instskip(SKIP_1) | instid1(VALU_DEP_3)
	v_fma_f32 v6, 0xcf800000, v5, |v1|
	v_cvt_u32_f32_e32 v1, v5
	v_mov_b32_e32 v5, v4
	s_delay_alu instid0(VALU_DEP_3) | instskip(NEXT) | instid1(VALU_DEP_3)
	v_cvt_u32_f32_e32 v6, v6
	v_xor_b32_e32 v7, v1, v4
	s_delay_alu instid0(VALU_DEP_2) | instskip(NEXT) | instid1(VALU_DEP_1)
	v_xor_b32_e32 v6, v6, v4
	v_sub_nc_u64_e32 v[4:5], v[6:7], v[4:5]
	global_store_b64 v[2:3], v[4:5], off
.LBB14_130:
	s_and_not1_b32 vcc_lo, exec_lo, s17
	s_cbranch_vccnz .LBB14_132
; %bb.131:
	s_wait_xcnt 0x0
	v_cvt_i32_f32_e32 v1, v0
	global_store_b32 v[2:3], v1, off
.LBB14_132:
	s_mov_b32 s17, 0
.LBB14_133:
	s_delay_alu instid0(SALU_CYCLE_1)
	s_and_not1_b32 vcc_lo, exec_lo, s17
	s_cbranch_vccnz .LBB14_135
; %bb.134:
	s_wait_xcnt 0x0
	v_cvt_i32_f32_e32 v1, v0
	global_store_b16 v[2:3], v1, off
.LBB14_135:
	s_mov_b32 s17, 0
.LBB14_136:
	s_delay_alu instid0(SALU_CYCLE_1)
	s_and_not1_b32 vcc_lo, exec_lo, s17
	s_cbranch_vccnz .LBB14_141
; %bb.137:
	s_cmp_gt_i32 s12, 0
	s_mov_b32 s12, -1
	s_cbranch_scc0 .LBB14_139
; %bb.138:
	s_wait_xcnt 0x0
	v_cvt_i32_f32_e32 v1, v0
	s_mov_b32 s12, 0
	global_store_b8 v[2:3], v1, off
.LBB14_139:
	s_and_not1_b32 vcc_lo, exec_lo, s12
	s_cbranch_vccnz .LBB14_141
; %bb.140:
	s_wait_xcnt 0x0
	v_trunc_f32_e32 v0, v0
	s_delay_alu instid0(VALU_DEP_1) | instskip(NEXT) | instid1(VALU_DEP_1)
	v_mul_f32_e64 v1, 0x2f800000, |v0|
	v_floor_f32_e32 v1, v1
	s_delay_alu instid0(VALU_DEP_1) | instskip(SKIP_1) | instid1(VALU_DEP_2)
	v_fma_f32 v1, 0xcf800000, v1, |v0|
	v_ashrrev_i32_e32 v0, 31, v0
	v_cvt_u32_f32_e32 v1, v1
	s_delay_alu instid0(VALU_DEP_1) | instskip(NEXT) | instid1(VALU_DEP_1)
	v_xor_b32_e32 v1, v1, v0
	v_sub_nc_u32_e32 v0, v1, v0
	global_store_b8 v[2:3], v0, off
.LBB14_141:
.LBB14_142:
	v_add_nc_u32_e32 v8, 0x80, v8
	s_mov_b32 s17, -1
	s_branch .LBB14_253
.LBB14_143:
	s_mov_b32 s14, -1
                                        ; implicit-def: $vgpr2
.LBB14_144:
	s_mov_b32 s17, 0
.LBB14_145:
	s_delay_alu instid0(SALU_CYCLE_1)
	s_and_b32 vcc_lo, exec_lo, s17
	s_cbranch_vccz .LBB14_149
; %bb.146:
	s_cmp_eq_u32 s0, 29
	s_cbranch_scc0 .LBB14_148
; %bb.147:
	global_load_b64 v[2:3], v[0:1], off
	s_mov_b32 s12, -1
	s_mov_b32 s14, 0
	s_mov_b32 s17, 0
	s_wait_loadcnt 0x0
	v_clz_i32_u32_e32 v4, v3
	s_delay_alu instid0(VALU_DEP_1) | instskip(NEXT) | instid1(VALU_DEP_1)
	v_min_u32_e32 v4, 32, v4
	v_lshlrev_b64_e32 v[2:3], v4, v[2:3]
	s_delay_alu instid0(VALU_DEP_1) | instskip(NEXT) | instid1(VALU_DEP_1)
	v_min_u32_e32 v2, 1, v2
	v_dual_sub_nc_u32 v3, 32, v4 :: v_dual_bitop2_b32 v2, v3, v2 bitop3:0x54
	s_delay_alu instid0(VALU_DEP_1) | instskip(NEXT) | instid1(VALU_DEP_1)
	v_cvt_f32_u32_e32 v2, v2
	v_ldexp_f32 v2, v2, v3
	s_branch .LBB14_150
.LBB14_148:
	s_mov_b32 s14, -1
                                        ; implicit-def: $vgpr2
.LBB14_149:
	s_mov_b32 s17, 0
.LBB14_150:
	s_delay_alu instid0(SALU_CYCLE_1)
	s_and_b32 vcc_lo, exec_lo, s17
	s_cbranch_vccz .LBB14_168
; %bb.151:
	s_cmp_lt_i32 s0, 27
	s_cbranch_scc1 .LBB14_154
; %bb.152:
	s_cmp_gt_i32 s0, 27
	s_cbranch_scc0 .LBB14_155
; %bb.153:
	global_load_b32 v2, v[0:1], off
	s_mov_b32 s12, 0
	s_wait_loadcnt 0x0
	v_cvt_f32_u32_e32 v2, v2
	s_branch .LBB14_156
.LBB14_154:
	s_mov_b32 s12, -1
                                        ; implicit-def: $vgpr2
	s_branch .LBB14_159
.LBB14_155:
	s_mov_b32 s12, -1
                                        ; implicit-def: $vgpr2
.LBB14_156:
	s_delay_alu instid0(SALU_CYCLE_1)
	s_and_not1_b32 vcc_lo, exec_lo, s12
	s_cbranch_vccnz .LBB14_158
; %bb.157:
	global_load_u16 v2, v[0:1], off
	s_wait_loadcnt 0x0
	v_cvt_f32_u32_e32 v2, v2
.LBB14_158:
	s_mov_b32 s12, 0
.LBB14_159:
	s_delay_alu instid0(SALU_CYCLE_1)
	s_and_not1_b32 vcc_lo, exec_lo, s12
	s_cbranch_vccnz .LBB14_167
; %bb.160:
	global_load_u8 v3, v[0:1], off
	s_mov_b32 s12, 0
	s_mov_b32 s17, exec_lo
	s_wait_loadcnt 0x0
	v_cmpx_lt_i16_e32 0x7f, v3
	s_xor_b32 s17, exec_lo, s17
	s_cbranch_execz .LBB14_180
; %bb.161:
	s_mov_b32 s12, -1
	s_mov_b32 s18, exec_lo
	v_cmpx_eq_u16_e32 0x80, v3
; %bb.162:
	s_xor_b32 s12, exec_lo, -1
; %bb.163:
	s_or_b32 exec_lo, exec_lo, s18
	s_delay_alu instid0(SALU_CYCLE_1)
	s_and_b32 s12, s12, exec_lo
	s_or_saveexec_b32 s17, s17
	v_mov_b32_e32 v2, 0x7f800001
	s_xor_b32 exec_lo, exec_lo, s17
	s_cbranch_execnz .LBB14_181
.LBB14_164:
	s_or_b32 exec_lo, exec_lo, s17
	s_and_saveexec_b32 s17, s12
	s_cbranch_execz .LBB14_166
.LBB14_165:
	v_and_b32_e32 v2, 0xffff, v3
	s_delay_alu instid0(VALU_DEP_1) | instskip(SKIP_1) | instid1(VALU_DEP_2)
	v_and_b32_e32 v4, 7, v2
	v_bfe_u32 v7, v2, 3, 4
	v_clz_i32_u32_e32 v5, v4
	s_delay_alu instid0(VALU_DEP_2) | instskip(NEXT) | instid1(VALU_DEP_2)
	v_cmp_eq_u32_e32 vcc_lo, 0, v7
	v_min_u32_e32 v5, 32, v5
	s_delay_alu instid0(VALU_DEP_1) | instskip(NEXT) | instid1(VALU_DEP_1)
	v_subrev_nc_u32_e32 v6, 28, v5
	v_dual_lshlrev_b32 v2, v6, v2 :: v_dual_sub_nc_u32 v5, 29, v5
	s_delay_alu instid0(VALU_DEP_1) | instskip(NEXT) | instid1(VALU_DEP_1)
	v_dual_lshlrev_b32 v3, 24, v3 :: v_dual_bitop2_b32 v2, 7, v2 bitop3:0x40
	v_dual_cndmask_b32 v5, v7, v5 :: v_dual_cndmask_b32 v2, v4, v2
	s_delay_alu instid0(VALU_DEP_2) | instskip(NEXT) | instid1(VALU_DEP_2)
	v_and_b32_e32 v3, 0x80000000, v3
	v_lshl_add_u32 v4, v5, 23, 0x3b800000
	s_delay_alu instid0(VALU_DEP_3) | instskip(NEXT) | instid1(VALU_DEP_1)
	v_lshlrev_b32_e32 v2, 20, v2
	v_or3_b32 v2, v3, v4, v2
.LBB14_166:
	s_or_b32 exec_lo, exec_lo, s17
.LBB14_167:
	s_mov_b32 s12, -1
.LBB14_168:
	s_branch .LBB14_203
.LBB14_169:
	s_cmp_gt_i32 s0, 22
	s_cbranch_scc0 .LBB14_179
; %bb.170:
	s_cmp_lt_i32 s0, 24
	s_cbranch_scc1 .LBB14_182
; %bb.171:
	s_cmp_gt_i32 s0, 24
	s_cbranch_scc0 .LBB14_183
; %bb.172:
	global_load_u8 v3, v[0:1], off
	s_mov_b32 s12, 0
	s_mov_b32 s17, exec_lo
	s_wait_loadcnt 0x0
	v_cmpx_lt_i16_e32 0x7f, v3
	s_xor_b32 s17, exec_lo, s17
	s_cbranch_execz .LBB14_195
; %bb.173:
	s_mov_b32 s12, -1
	s_mov_b32 s18, exec_lo
	v_cmpx_eq_u16_e32 0x80, v3
; %bb.174:
	s_xor_b32 s12, exec_lo, -1
; %bb.175:
	s_or_b32 exec_lo, exec_lo, s18
	s_delay_alu instid0(SALU_CYCLE_1)
	s_and_b32 s12, s12, exec_lo
	s_or_saveexec_b32 s17, s17
	v_mov_b32_e32 v2, 0x7f800001
	s_xor_b32 exec_lo, exec_lo, s17
	s_cbranch_execnz .LBB14_196
.LBB14_176:
	s_or_b32 exec_lo, exec_lo, s17
	s_and_saveexec_b32 s17, s12
	s_cbranch_execz .LBB14_178
.LBB14_177:
	v_and_b32_e32 v2, 0xffff, v3
	s_delay_alu instid0(VALU_DEP_1) | instskip(SKIP_1) | instid1(VALU_DEP_2)
	v_and_b32_e32 v4, 3, v2
	v_bfe_u32 v7, v2, 2, 5
	v_clz_i32_u32_e32 v5, v4
	s_delay_alu instid0(VALU_DEP_2) | instskip(NEXT) | instid1(VALU_DEP_2)
	v_cmp_eq_u32_e32 vcc_lo, 0, v7
	v_min_u32_e32 v5, 32, v5
	s_delay_alu instid0(VALU_DEP_1) | instskip(NEXT) | instid1(VALU_DEP_1)
	v_subrev_nc_u32_e32 v6, 29, v5
	v_dual_lshlrev_b32 v2, v6, v2 :: v_dual_sub_nc_u32 v5, 30, v5
	s_delay_alu instid0(VALU_DEP_1) | instskip(NEXT) | instid1(VALU_DEP_1)
	v_dual_lshlrev_b32 v3, 24, v3 :: v_dual_bitop2_b32 v2, 3, v2 bitop3:0x40
	v_dual_cndmask_b32 v5, v7, v5 :: v_dual_cndmask_b32 v2, v4, v2
	s_delay_alu instid0(VALU_DEP_2) | instskip(NEXT) | instid1(VALU_DEP_2)
	v_and_b32_e32 v3, 0x80000000, v3
	v_lshl_add_u32 v4, v5, 23, 0x37800000
	s_delay_alu instid0(VALU_DEP_3) | instskip(NEXT) | instid1(VALU_DEP_1)
	v_lshlrev_b32_e32 v2, 21, v2
	v_or3_b32 v2, v3, v4, v2
.LBB14_178:
	s_or_b32 exec_lo, exec_lo, s17
	s_mov_b32 s12, 0
	s_branch .LBB14_184
.LBB14_179:
	s_mov_b32 s17, -1
                                        ; implicit-def: $vgpr2
	s_branch .LBB14_190
.LBB14_180:
	s_or_saveexec_b32 s17, s17
	v_mov_b32_e32 v2, 0x7f800001
	s_xor_b32 exec_lo, exec_lo, s17
	s_cbranch_execz .LBB14_164
.LBB14_181:
	v_cmp_ne_u16_e32 vcc_lo, 0, v3
	v_mov_b32_e32 v2, 0
	s_and_not1_b32 s12, s12, exec_lo
	s_and_b32 s18, vcc_lo, exec_lo
	s_delay_alu instid0(SALU_CYCLE_1)
	s_or_b32 s12, s12, s18
	s_or_b32 exec_lo, exec_lo, s17
	s_and_saveexec_b32 s17, s12
	s_cbranch_execnz .LBB14_165
	s_branch .LBB14_166
.LBB14_182:
	s_mov_b32 s12, -1
                                        ; implicit-def: $vgpr2
	s_branch .LBB14_187
.LBB14_183:
	s_mov_b32 s12, -1
                                        ; implicit-def: $vgpr2
.LBB14_184:
	s_delay_alu instid0(SALU_CYCLE_1)
	s_and_b32 vcc_lo, exec_lo, s12
	s_cbranch_vccz .LBB14_186
; %bb.185:
	global_load_u8 v2, v[0:1], off
	s_wait_loadcnt 0x0
	v_lshlrev_b32_e32 v2, 24, v2
	s_delay_alu instid0(VALU_DEP_1) | instskip(NEXT) | instid1(VALU_DEP_1)
	v_and_b32_e32 v3, 0x7f000000, v2
	v_clz_i32_u32_e32 v4, v3
	v_cmp_ne_u32_e32 vcc_lo, 0, v3
	v_add_nc_u32_e32 v6, 0x1000000, v3
	s_delay_alu instid0(VALU_DEP_3) | instskip(NEXT) | instid1(VALU_DEP_1)
	v_min_u32_e32 v4, 32, v4
	v_sub_nc_u32_e64 v4, v4, 4 clamp
	s_delay_alu instid0(VALU_DEP_1) | instskip(NEXT) | instid1(VALU_DEP_1)
	v_dual_lshlrev_b32 v5, v4, v3 :: v_dual_lshlrev_b32 v4, 23, v4
	v_lshrrev_b32_e32 v5, 4, v5
	s_delay_alu instid0(VALU_DEP_1) | instskip(NEXT) | instid1(VALU_DEP_1)
	v_dual_sub_nc_u32 v4, v5, v4 :: v_dual_ashrrev_i32 v5, 8, v6
	v_add_nc_u32_e32 v4, 0x3c000000, v4
	s_delay_alu instid0(VALU_DEP_1) | instskip(NEXT) | instid1(VALU_DEP_1)
	v_and_or_b32 v4, 0x7f800000, v5, v4
	v_cndmask_b32_e32 v3, 0, v4, vcc_lo
	s_delay_alu instid0(VALU_DEP_1)
	v_and_or_b32 v2, 0x80000000, v2, v3
.LBB14_186:
	s_mov_b32 s12, 0
.LBB14_187:
	s_delay_alu instid0(SALU_CYCLE_1)
	s_and_not1_b32 vcc_lo, exec_lo, s12
	s_cbranch_vccnz .LBB14_189
; %bb.188:
	global_load_u8 v2, v[0:1], off
	s_wait_loadcnt 0x0
	v_lshlrev_b32_e32 v3, 25, v2
	v_lshlrev_b16 v2, 8, v2
	s_delay_alu instid0(VALU_DEP_1) | instskip(SKIP_1) | instid1(VALU_DEP_2)
	v_and_or_b32 v5, 0x7f00, v2, 0.5
	v_bfe_i32 v2, v2, 0, 16
	v_dual_add_f32 v5, -0.5, v5 :: v_dual_lshrrev_b32 v4, 4, v3
	v_cmp_gt_u32_e32 vcc_lo, 0x8000000, v3
	s_delay_alu instid0(VALU_DEP_2) | instskip(NEXT) | instid1(VALU_DEP_1)
	v_or_b32_e32 v4, 0x70000000, v4
	v_mul_f32_e32 v4, 0x7800000, v4
	s_delay_alu instid0(VALU_DEP_1) | instskip(NEXT) | instid1(VALU_DEP_1)
	v_cndmask_b32_e32 v3, v4, v5, vcc_lo
	v_and_or_b32 v2, 0x80000000, v2, v3
.LBB14_189:
	s_mov_b32 s17, 0
	s_mov_b32 s12, -1
.LBB14_190:
	s_and_not1_b32 vcc_lo, exec_lo, s17
	s_cbranch_vccnz .LBB14_203
; %bb.191:
	s_cmp_gt_i32 s0, 14
	s_cbranch_scc0 .LBB14_194
; %bb.192:
	s_cmp_eq_u32 s0, 15
	s_cbranch_scc0 .LBB14_197
; %bb.193:
	global_load_u16 v2, v[0:1], off
	s_mov_b32 s12, -1
	s_mov_b32 s14, 0
	s_wait_loadcnt 0x0
	v_lshlrev_b32_e32 v2, 16, v2
	s_branch .LBB14_198
.LBB14_194:
	s_mov_b32 s17, -1
                                        ; implicit-def: $vgpr2
	s_branch .LBB14_199
.LBB14_195:
	s_or_saveexec_b32 s17, s17
	v_mov_b32_e32 v2, 0x7f800001
	s_xor_b32 exec_lo, exec_lo, s17
	s_cbranch_execz .LBB14_176
.LBB14_196:
	v_cmp_ne_u16_e32 vcc_lo, 0, v3
	v_mov_b32_e32 v2, 0
	s_and_not1_b32 s12, s12, exec_lo
	s_and_b32 s18, vcc_lo, exec_lo
	s_delay_alu instid0(SALU_CYCLE_1)
	s_or_b32 s12, s12, s18
	s_or_b32 exec_lo, exec_lo, s17
	s_and_saveexec_b32 s17, s12
	s_cbranch_execnz .LBB14_177
	s_branch .LBB14_178
.LBB14_197:
	s_mov_b32 s14, -1
                                        ; implicit-def: $vgpr2
.LBB14_198:
	s_mov_b32 s17, 0
.LBB14_199:
	s_delay_alu instid0(SALU_CYCLE_1)
	s_and_b32 vcc_lo, exec_lo, s17
	s_cbranch_vccz .LBB14_203
; %bb.200:
	s_cmp_eq_u32 s0, 11
	s_cbranch_scc0 .LBB14_202
; %bb.201:
	global_load_u8 v2, v[0:1], off
	s_mov_b32 s14, 0
	s_mov_b32 s12, -1
	s_wait_loadcnt 0x0
	v_cmp_ne_u16_e32 vcc_lo, 0, v2
	v_cndmask_b32_e64 v2, 0, 1.0, vcc_lo
	s_branch .LBB14_203
.LBB14_202:
	s_mov_b32 s14, -1
                                        ; implicit-def: $vgpr2
.LBB14_203:
	s_branch .LBB14_10
.LBB14_204:
	s_cmp_lt_i32 s0, 5
	s_cbranch_scc1 .LBB14_209
; %bb.205:
	s_cmp_lt_i32 s0, 8
	s_cbranch_scc1 .LBB14_210
; %bb.206:
	;; [unrolled: 3-line block ×3, first 2 shown]
	s_cmp_gt_i32 s0, 9
	s_cbranch_scc0 .LBB14_212
; %bb.208:
	global_load_b64 v[2:3], v[0:1], off
	s_mov_b32 s12, 0
	s_wait_loadcnt 0x0
	v_cvt_f32_f64_e32 v2, v[2:3]
	s_branch .LBB14_213
.LBB14_209:
                                        ; implicit-def: $vgpr2
	s_branch .LBB14_231
.LBB14_210:
	s_mov_b32 s12, -1
                                        ; implicit-def: $vgpr2
	s_branch .LBB14_219
.LBB14_211:
	s_mov_b32 s12, -1
                                        ; implicit-def: $vgpr2
	s_branch .LBB14_216
.LBB14_212:
	s_mov_b32 s12, -1
                                        ; implicit-def: $vgpr2
.LBB14_213:
	s_delay_alu instid0(SALU_CYCLE_1)
	s_and_not1_b32 vcc_lo, exec_lo, s12
	s_cbranch_vccnz .LBB14_215
; %bb.214:
	global_load_b32 v2, v[0:1], off
.LBB14_215:
	s_mov_b32 s12, 0
.LBB14_216:
	s_delay_alu instid0(SALU_CYCLE_1)
	s_and_not1_b32 vcc_lo, exec_lo, s12
	s_cbranch_vccnz .LBB14_218
; %bb.217:
	s_wait_loadcnt 0x0
	global_load_b32 v2, v[0:1], off
	s_wait_loadcnt 0x0
	v_cvt_f32_f16_e32 v2, v2
.LBB14_218:
	s_mov_b32 s12, 0
.LBB14_219:
	s_delay_alu instid0(SALU_CYCLE_1)
	s_and_not1_b32 vcc_lo, exec_lo, s12
	s_cbranch_vccnz .LBB14_230
; %bb.220:
	s_cmp_lt_i32 s0, 6
	s_cbranch_scc1 .LBB14_223
; %bb.221:
	s_cmp_gt_i32 s0, 6
	s_cbranch_scc0 .LBB14_224
; %bb.222:
	s_wait_loadcnt 0x0
	global_load_b64 v[2:3], v[0:1], off
	s_mov_b32 s12, 0
	s_wait_loadcnt 0x0
	v_cvt_f32_f64_e32 v2, v[2:3]
	s_branch .LBB14_225
.LBB14_223:
	s_mov_b32 s12, -1
                                        ; implicit-def: $vgpr2
	s_branch .LBB14_228
.LBB14_224:
	s_mov_b32 s12, -1
                                        ; implicit-def: $vgpr2
.LBB14_225:
	s_delay_alu instid0(SALU_CYCLE_1)
	s_and_not1_b32 vcc_lo, exec_lo, s12
	s_cbranch_vccnz .LBB14_227
; %bb.226:
	s_wait_loadcnt 0x0
	global_load_b32 v2, v[0:1], off
.LBB14_227:
	s_mov_b32 s12, 0
.LBB14_228:
	s_delay_alu instid0(SALU_CYCLE_1)
	s_and_not1_b32 vcc_lo, exec_lo, s12
	s_cbranch_vccnz .LBB14_230
; %bb.229:
	s_wait_loadcnt 0x0
	global_load_u16 v2, v[0:1], off
	s_wait_loadcnt 0x0
	v_cvt_f32_f16_e32 v2, v2
.LBB14_230:
	s_cbranch_execnz .LBB14_250
.LBB14_231:
	s_cmp_lt_i32 s0, 2
	s_cbranch_scc1 .LBB14_235
; %bb.232:
	s_cmp_lt_i32 s0, 3
	s_cbranch_scc1 .LBB14_236
; %bb.233:
	s_cmp_gt_i32 s0, 3
	s_cbranch_scc0 .LBB14_237
; %bb.234:
	s_wait_loadcnt 0x0
	global_load_b64 v[2:3], v[0:1], off
	s_mov_b32 s12, 0
	s_wait_loadcnt 0x0
	v_xor_b32_e32 v4, v2, v3
	v_cls_i32_e32 v5, v3
	s_delay_alu instid0(VALU_DEP_2) | instskip(NEXT) | instid1(VALU_DEP_1)
	v_ashrrev_i32_e32 v4, 31, v4
	v_add_nc_u32_e32 v4, 32, v4
	s_delay_alu instid0(VALU_DEP_1) | instskip(NEXT) | instid1(VALU_DEP_1)
	v_add_min_u32_e64 v4, v5, -1, v4
	v_lshlrev_b64_e32 v[2:3], v4, v[2:3]
	s_delay_alu instid0(VALU_DEP_1) | instskip(NEXT) | instid1(VALU_DEP_1)
	v_min_u32_e32 v2, 1, v2
	v_dual_sub_nc_u32 v3, 32, v4 :: v_dual_bitop2_b32 v2, v3, v2 bitop3:0x54
	s_delay_alu instid0(VALU_DEP_1) | instskip(NEXT) | instid1(VALU_DEP_1)
	v_cvt_f32_i32_e32 v2, v2
	v_ldexp_f32 v2, v2, v3
	s_branch .LBB14_238
.LBB14_235:
	s_mov_b32 s12, -1
                                        ; implicit-def: $vgpr2
	s_branch .LBB14_244
.LBB14_236:
	s_mov_b32 s12, -1
                                        ; implicit-def: $vgpr2
	s_branch .LBB14_241
.LBB14_237:
	s_mov_b32 s12, -1
                                        ; implicit-def: $vgpr2
.LBB14_238:
	s_delay_alu instid0(SALU_CYCLE_1)
	s_and_not1_b32 vcc_lo, exec_lo, s12
	s_cbranch_vccnz .LBB14_240
; %bb.239:
	s_wait_loadcnt 0x0
	global_load_b32 v2, v[0:1], off
	s_wait_loadcnt 0x0
	v_cvt_f32_i32_e32 v2, v2
.LBB14_240:
	s_mov_b32 s12, 0
.LBB14_241:
	s_delay_alu instid0(SALU_CYCLE_1)
	s_and_not1_b32 vcc_lo, exec_lo, s12
	s_cbranch_vccnz .LBB14_243
; %bb.242:
	s_wait_loadcnt 0x0
	global_load_i16 v2, v[0:1], off
	s_wait_loadcnt 0x0
	v_cvt_f32_i32_e32 v2, v2
.LBB14_243:
	s_mov_b32 s12, 0
.LBB14_244:
	s_delay_alu instid0(SALU_CYCLE_1)
	s_and_not1_b32 vcc_lo, exec_lo, s12
	s_cbranch_vccnz .LBB14_250
; %bb.245:
	s_cmp_gt_i32 s0, 0
	s_mov_b32 s0, 0
	s_cbranch_scc0 .LBB14_247
; %bb.246:
	s_wait_loadcnt 0x0
	global_load_i8 v2, v[0:1], off
	s_wait_loadcnt 0x0
	v_cvt_f32_i32_e32 v2, v2
	s_branch .LBB14_248
.LBB14_247:
	s_mov_b32 s0, -1
                                        ; implicit-def: $vgpr2
.LBB14_248:
	s_delay_alu instid0(SALU_CYCLE_1)
	s_and_not1_b32 vcc_lo, exec_lo, s0
	s_cbranch_vccnz .LBB14_250
; %bb.249:
	global_load_u8 v0, v[0:1], off
	s_wait_loadcnt 0x0
	v_cvt_f32_ubyte0_e32 v2, v0
.LBB14_250:
	s_branch .LBB14_11
.LBB14_251:
	s_mov_b32 s0, 0
.LBB14_252:
	s_mov_b32 s17, 0
                                        ; implicit-def: $vgpr8
.LBB14_253:
	s_and_b32 s12, s0, exec_lo
	s_and_b32 s14, s14, exec_lo
	s_or_not1_b32 s18, s17, exec_lo
.LBB14_254:
	s_wait_xcnt 0x0
	s_or_b32 exec_lo, exec_lo, s15
	s_mov_b32 s17, 0
	s_mov_b32 s0, 0
                                        ; implicit-def: $vgpr0_vgpr1
                                        ; implicit-def: $vgpr4
	s_and_saveexec_b32 s15, s18
	s_cbranch_execz .LBB14_263
; %bb.255:
	s_mov_b32 s0, -1
	s_mov_b32 s16, s14
	s_mov_b32 s17, s12
	s_mov_b32 s18, exec_lo
	v_cmpx_gt_i32_e64 s13, v8
	s_cbranch_execz .LBB14_519
; %bb.256:
	v_mul_lo_u32 v0, v8, s9
	s_and_b32 s0, 0xffff, s2
	s_delay_alu instid0(SALU_CYCLE_1) | instskip(NEXT) | instid1(VALU_DEP_1)
	s_cmp_lt_i32 s0, 11
	v_ashrrev_i32_e32 v1, 31, v0
	s_delay_alu instid0(VALU_DEP_1)
	v_add_nc_u64_e32 v[0:1], s[6:7], v[0:1]
	s_cbranch_scc1 .LBB14_266
; %bb.257:
	s_cmp_gt_i32 s0, 25
	s_cbranch_scc0 .LBB14_277
; %bb.258:
	s_cmp_gt_i32 s0, 28
	s_cbranch_scc0 .LBB14_279
; %bb.259:
	s_cmp_gt_i32 s0, 43
	s_cbranch_scc0 .LBB14_281
; %bb.260:
	s_cmp_gt_i32 s0, 45
	s_cbranch_scc0 .LBB14_285
; %bb.261:
	s_cmp_eq_u32 s0, 46
	s_mov_b32 s19, 0
	s_cbranch_scc0 .LBB14_289
; %bb.262:
	s_wait_loadcnt 0x0
	global_load_b32 v2, v[0:1], off
	s_mov_b32 s17, -1
	s_mov_b32 s16, 0
	s_wait_loadcnt 0x0
	v_lshlrev_b32_e32 v2, 16, v2
	s_branch .LBB14_291
.LBB14_263:
	s_or_b32 exec_lo, exec_lo, s15
	s_mov_b32 s13, 0
	s_and_saveexec_b32 s15, s14
	s_cbranch_execnz .LBB14_869
.LBB14_264:
	s_or_b32 exec_lo, exec_lo, s15
	s_and_saveexec_b32 s14, s16
	s_delay_alu instid0(SALU_CYCLE_1)
	s_xor_b32 s14, exec_lo, s14
	s_cbranch_execz .LBB14_870
.LBB14_265:
	s_wait_loadcnt 0x0
	global_load_u8 v2, v[0:1], off
	s_or_b32 s0, s0, exec_lo
	s_wait_loadcnt 0x0
	v_cmp_ne_u16_e32 vcc_lo, 0, v2
	v_cndmask_b32_e64 v4, 0, 1.0, vcc_lo
	s_wait_xcnt 0x0
	s_or_b32 exec_lo, exec_lo, s14
	s_and_saveexec_b32 s14, s17
	s_cbranch_execz .LBB14_916
	s_branch .LBB14_871
.LBB14_266:
	s_mov_b32 s17, 0
	s_mov_b32 s16, s14
                                        ; implicit-def: $vgpr2
	s_cbranch_execnz .LBB14_468
.LBB14_267:
	s_and_not1_b32 vcc_lo, exec_lo, s17
	s_cbranch_vccnz .LBB14_516
.LBB14_268:
	s_wait_xcnt 0x0
	v_mov_b32_e32 v0, 1.0
	s_mov_b32 s0, exec_lo
	s_wait_loadcnt 0x0
	s_delay_alu instid0(VALU_DEP_2)
	v_cmpx_lt_f32_e32 s10, v2
	s_cbranch_execz .LBB14_270
; %bb.269:
	v_add_f32_e32 v0, 0x33d6bf95, v2
	s_delay_alu instid0(VALU_DEP_1) | instskip(NEXT) | instid1(VALU_DEP_1)
	v_div_scale_f32 v1, null, v0, v0, s10
	v_rcp_f32_e32 v2, v1
	v_nop
	s_delay_alu instid0(TRANS32_DEP_1) | instskip(NEXT) | instid1(VALU_DEP_1)
	v_fma_f32 v3, -v1, v2, 1.0
	v_fmac_f32_e32 v2, v3, v2
	v_div_scale_f32 v3, vcc_lo, s10, v0, s10
	s_delay_alu instid0(VALU_DEP_1) | instskip(NEXT) | instid1(VALU_DEP_1)
	v_mul_f32_e32 v4, v3, v2
	v_fma_f32 v5, -v1, v4, v3
	s_delay_alu instid0(VALU_DEP_1) | instskip(NEXT) | instid1(VALU_DEP_1)
	v_fmac_f32_e32 v4, v5, v2
	v_fma_f32 v1, -v1, v4, v3
	s_delay_alu instid0(VALU_DEP_1) | instskip(NEXT) | instid1(VALU_DEP_1)
	v_div_fmas_f32 v1, v1, v2, v4
	v_div_fixup_f32 v0, v1, v0, s10
.LBB14_270:
	s_or_b32 exec_lo, exec_lo, s0
	v_mul_lo_u32 v2, v8, s8
	s_and_b32 s17, s11, 0xff
	s_delay_alu instid0(SALU_CYCLE_1) | instskip(NEXT) | instid1(VALU_DEP_1)
	s_cmp_lt_i32 s17, 11
	v_ashrrev_i32_e32 v3, 31, v2
	s_delay_alu instid0(VALU_DEP_1)
	v_add_nc_u64_e32 v[2:3], s[4:5], v[2:3]
	s_cbranch_scc1 .LBB14_278
; %bb.271:
	s_and_b32 s19, 0xffff, s17
	s_delay_alu instid0(SALU_CYCLE_1)
	s_cmp_gt_i32 s19, 25
	s_cbranch_scc0 .LBB14_280
; %bb.272:
	s_cmp_gt_i32 s19, 28
	s_cbranch_scc0 .LBB14_282
; %bb.273:
	;; [unrolled: 3-line block ×4, first 2 shown]
	s_mov_b32 s21, 0
	s_mov_b32 s0, -1
	s_cmp_eq_u32 s19, 46
	s_mov_b32 s20, 0
	s_cbranch_scc0 .LBB14_295
; %bb.276:
	v_bfe_u32 v1, v0, 16, 1
	v_cmp_o_f32_e32 vcc_lo, v0, v0
	s_mov_b32 s20, -1
	s_mov_b32 s0, 0
	s_delay_alu instid0(VALU_DEP_2) | instskip(NEXT) | instid1(VALU_DEP_1)
	v_add3_u32 v1, v0, v1, 0x7fff
	v_lshrrev_b32_e32 v1, 16, v1
	s_delay_alu instid0(VALU_DEP_1)
	v_cndmask_b32_e32 v1, 0x7fc0, v1, vcc_lo
	global_store_b32 v[2:3], v1, off
	s_branch .LBB14_295
.LBB14_277:
	s_mov_b32 s19, -1
	s_mov_b32 s17, 0
	s_mov_b32 s16, s14
                                        ; implicit-def: $vgpr2
	s_branch .LBB14_432
.LBB14_278:
	s_mov_b32 s19, -1
	s_mov_b32 s20, 0
	s_mov_b32 s0, s12
	s_branch .LBB14_364
.LBB14_279:
	s_mov_b32 s19, -1
	s_mov_b32 s17, 0
	s_mov_b32 s16, s14
                                        ; implicit-def: $vgpr2
	s_branch .LBB14_413
.LBB14_280:
	s_mov_b32 s21, -1
	s_mov_b32 s20, 0
	s_mov_b32 s0, s12
	s_branch .LBB14_322
.LBB14_281:
	s_mov_b32 s19, -1
	s_mov_b32 s17, 0
	s_mov_b32 s16, s14
                                        ; implicit-def: $vgpr2
	s_branch .LBB14_408
.LBB14_282:
	s_mov_b32 s21, -1
	s_mov_b32 s20, 0
	s_mov_b32 s0, s12
	s_branch .LBB14_305
.LBB14_283:
	s_and_not1_saveexec_b32 s20, s20
	s_cbranch_execz .LBB14_56
.LBB14_284:
	v_add_f32_e64 v1, 0x46000000, |v0|
	s_and_not1_b32 s19, s19, exec_lo
	s_delay_alu instid0(VALU_DEP_1) | instskip(NEXT) | instid1(VALU_DEP_1)
	v_and_b32_e32 v1, 0xff, v1
	v_cmp_ne_u32_e32 vcc_lo, 0, v1
	s_and_b32 s21, vcc_lo, exec_lo
	s_delay_alu instid0(SALU_CYCLE_1)
	s_or_b32 s19, s19, s21
	s_or_b32 exec_lo, exec_lo, s20
	v_mov_b32_e32 v4, 0
	s_and_saveexec_b32 s20, s19
	s_cbranch_execnz .LBB14_57
	s_branch .LBB14_58
.LBB14_285:
	s_mov_b32 s19, -1
	s_mov_b32 s17, 0
	s_mov_b32 s16, s14
	s_branch .LBB14_290
.LBB14_286:
	s_mov_b32 s21, -1
	s_mov_b32 s20, 0
	s_mov_b32 s0, s12
	s_branch .LBB14_301
.LBB14_287:
	s_and_not1_saveexec_b32 s20, s20
	s_cbranch_execz .LBB14_69
.LBB14_288:
	v_add_f32_e64 v1, 0x42800000, |v0|
	s_and_not1_b32 s19, s19, exec_lo
	s_delay_alu instid0(VALU_DEP_1) | instskip(NEXT) | instid1(VALU_DEP_1)
	v_and_b32_e32 v1, 0xff, v1
	v_cmp_ne_u32_e32 vcc_lo, 0, v1
	s_and_b32 s21, vcc_lo, exec_lo
	s_delay_alu instid0(SALU_CYCLE_1)
	s_or_b32 s19, s19, s21
	s_or_b32 exec_lo, exec_lo, s20
	v_mov_b32_e32 v4, 0
	s_and_saveexec_b32 s20, s19
	s_cbranch_execnz .LBB14_70
	s_branch .LBB14_71
.LBB14_289:
	s_mov_b32 s16, -1
	s_mov_b32 s17, 0
.LBB14_290:
                                        ; implicit-def: $vgpr2
.LBB14_291:
	s_and_b32 vcc_lo, exec_lo, s19
	s_cbranch_vccz .LBB14_407
; %bb.292:
	s_cmp_eq_u32 s0, 44
	s_cbranch_scc0 .LBB14_406
; %bb.293:
	s_wait_loadcnt 0x0
	global_load_u8 v2, v[0:1], off
	s_mov_b32 s16, 0
	s_mov_b32 s17, -1
	s_wait_loadcnt 0x0
	v_lshlrev_b32_e32 v3, 23, v2
	v_cmp_ne_u32_e32 vcc_lo, 0xff, v2
	s_delay_alu instid0(VALU_DEP_2) | instskip(SKIP_1) | instid1(VALU_DEP_2)
	v_cndmask_b32_e32 v3, 0x7f800001, v3, vcc_lo
	v_cmp_ne_u32_e32 vcc_lo, 0, v2
	v_cndmask_b32_e32 v2, 0x400000, v3, vcc_lo
	s_branch .LBB14_407
.LBB14_294:
	s_mov_b32 s21, -1
	s_mov_b32 s20, 0
	s_mov_b32 s0, s12
.LBB14_295:
	s_and_b32 vcc_lo, exec_lo, s21
	s_cbranch_vccz .LBB14_300
; %bb.296:
	s_cmp_eq_u32 s19, 44
	s_mov_b32 s0, -1
	s_cbranch_scc0 .LBB14_300
; %bb.297:
	v_bfe_u32 v4, v0, 23, 8
	s_wait_xcnt 0x0
	v_mov_b32_e32 v1, 0xff
	s_mov_b32 s20, exec_lo
	s_delay_alu instid0(VALU_DEP_2)
	v_cmpx_ne_u32_e32 0xff, v4
	s_cbranch_execz .LBB14_299
; %bb.298:
	v_and_b32_e32 v1, 0x400000, v0
	v_and_or_b32 v4, 0x3fffff, v0, v4
	s_delay_alu instid0(VALU_DEP_2) | instskip(NEXT) | instid1(VALU_DEP_2)
	v_cmp_ne_u32_e32 vcc_lo, 0, v1
	v_cmp_ne_u32_e64 s0, 0, v4
	v_lshrrev_b32_e32 v1, 23, v0
	s_and_b32 s0, vcc_lo, s0
	s_delay_alu instid0(SALU_CYCLE_1) | instskip(NEXT) | instid1(VALU_DEP_1)
	v_cndmask_b32_e64 v4, 0, 1, s0
	v_add_nc_u32_e32 v1, v1, v4
.LBB14_299:
	s_or_b32 exec_lo, exec_lo, s20
	s_mov_b32 s20, -1
	s_mov_b32 s0, 0
	global_store_b8 v[2:3], v1, off
.LBB14_300:
	s_mov_b32 s21, 0
.LBB14_301:
	s_delay_alu instid0(SALU_CYCLE_1)
	s_and_b32 vcc_lo, exec_lo, s21
	s_cbranch_vccz .LBB14_304
; %bb.302:
	s_cmp_eq_u32 s19, 29
	s_mov_b32 s0, -1
	s_cbranch_scc0 .LBB14_304
; %bb.303:
	s_wait_xcnt 0x0
	v_trunc_f32_e32 v1, v0
	s_mov_b32 s20, -1
	s_mov_b32 s0, 0
	s_mov_b32 s21, 0
	s_delay_alu instid0(VALU_DEP_1) | instskip(NEXT) | instid1(VALU_DEP_1)
	v_mul_f32_e32 v4, 0x2f800000, v1
	v_floor_f32_e32 v4, v4
	s_delay_alu instid0(VALU_DEP_1) | instskip(SKIP_1) | instid1(VALU_DEP_2)
	v_fmamk_f32 v1, v4, 0xcf800000, v1
	v_cvt_u32_f32_e32 v5, v4
	v_cvt_u32_f32_e32 v4, v1
	global_store_b64 v[2:3], v[4:5], off
	s_branch .LBB14_305
.LBB14_304:
	s_mov_b32 s21, 0
.LBB14_305:
	s_delay_alu instid0(SALU_CYCLE_1)
	s_and_b32 vcc_lo, exec_lo, s21
	s_cbranch_vccz .LBB14_321
; %bb.306:
	s_cmp_lt_i32 s19, 27
	s_mov_b32 s20, -1
	s_cbranch_scc1 .LBB14_312
; %bb.307:
	s_wait_xcnt 0x0
	v_cvt_u32_f32_e32 v1, v0
	s_cmp_gt_i32 s19, 27
	s_cbranch_scc0 .LBB14_309
; %bb.308:
	s_mov_b32 s20, 0
	global_store_b32 v[2:3], v1, off
.LBB14_309:
	s_and_not1_b32 vcc_lo, exec_lo, s20
	s_cbranch_vccnz .LBB14_311
; %bb.310:
	global_store_b16 v[2:3], v1, off
.LBB14_311:
	s_mov_b32 s20, 0
.LBB14_312:
	s_delay_alu instid0(SALU_CYCLE_1)
	s_and_not1_b32 vcc_lo, exec_lo, s20
	s_cbranch_vccnz .LBB14_320
; %bb.313:
	s_wait_xcnt 0x0
	v_and_b32_e32 v1, 0x7fffffff, v0
	v_mov_b32_e32 v4, 0x80
	s_mov_b32 s20, exec_lo
	s_delay_alu instid0(VALU_DEP_2)
	v_cmpx_gt_u32_e32 0x43800000, v1
	s_cbranch_execz .LBB14_319
; %bb.314:
	v_cmp_lt_u32_e32 vcc_lo, 0x3bffffff, v1
	s_mov_b32 s21, 0
                                        ; implicit-def: $vgpr1
	s_and_saveexec_b32 s22, vcc_lo
	s_delay_alu instid0(SALU_CYCLE_1)
	s_xor_b32 s22, exec_lo, s22
	s_cbranch_execz .LBB14_532
; %bb.315:
	v_bfe_u32 v1, v0, 20, 1
	s_mov_b32 s21, exec_lo
	s_delay_alu instid0(VALU_DEP_1) | instskip(NEXT) | instid1(VALU_DEP_1)
	v_add3_u32 v1, v0, v1, 0x487ffff
	v_lshrrev_b32_e32 v1, 20, v1
	s_and_not1_saveexec_b32 s22, s22
	s_cbranch_execnz .LBB14_533
.LBB14_316:
	s_or_b32 exec_lo, exec_lo, s22
	v_mov_b32_e32 v4, 0
	s_and_saveexec_b32 s22, s21
.LBB14_317:
	v_lshrrev_b32_e32 v4, 24, v0
	s_delay_alu instid0(VALU_DEP_1)
	v_and_or_b32 v4, 0x80, v4, v1
.LBB14_318:
	s_or_b32 exec_lo, exec_lo, s22
.LBB14_319:
	s_delay_alu instid0(SALU_CYCLE_1)
	s_or_b32 exec_lo, exec_lo, s20
	global_store_b8 v[2:3], v4, off
.LBB14_320:
	s_mov_b32 s20, -1
.LBB14_321:
	s_mov_b32 s21, 0
.LBB14_322:
	s_delay_alu instid0(SALU_CYCLE_1)
	s_and_b32 vcc_lo, exec_lo, s21
	s_cbranch_vccz .LBB14_363
; %bb.323:
	s_cmp_gt_i32 s19, 22
	s_mov_b32 s21, -1
	s_cbranch_scc0 .LBB14_355
; %bb.324:
	s_cmp_lt_i32 s19, 24
	s_mov_b32 s20, -1
	s_cbranch_scc1 .LBB14_344
; %bb.325:
	s_cmp_gt_i32 s19, 24
	s_cbranch_scc0 .LBB14_333
; %bb.326:
	s_wait_xcnt 0x0
	v_and_b32_e32 v1, 0x7fffffff, v0
	v_mov_b32_e32 v4, 0x80
	s_mov_b32 s20, exec_lo
	s_delay_alu instid0(VALU_DEP_2)
	v_cmpx_gt_u32_e32 0x47800000, v1
	s_cbranch_execz .LBB14_332
; %bb.327:
	v_cmp_lt_u32_e32 vcc_lo, 0x37ffffff, v1
	s_mov_b32 s21, 0
                                        ; implicit-def: $vgpr1
	s_and_saveexec_b32 s22, vcc_lo
	s_delay_alu instid0(SALU_CYCLE_1)
	s_xor_b32 s22, exec_lo, s22
	s_cbranch_execz .LBB14_535
; %bb.328:
	v_bfe_u32 v1, v0, 21, 1
	s_mov_b32 s21, exec_lo
	s_delay_alu instid0(VALU_DEP_1) | instskip(NEXT) | instid1(VALU_DEP_1)
	v_add3_u32 v1, v0, v1, 0x88fffff
	v_lshrrev_b32_e32 v1, 21, v1
	s_and_not1_saveexec_b32 s22, s22
	s_cbranch_execnz .LBB14_536
.LBB14_329:
	s_or_b32 exec_lo, exec_lo, s22
	v_mov_b32_e32 v4, 0
	s_and_saveexec_b32 s22, s21
.LBB14_330:
	v_lshrrev_b32_e32 v4, 24, v0
	s_delay_alu instid0(VALU_DEP_1)
	v_and_or_b32 v4, 0x80, v4, v1
.LBB14_331:
	s_or_b32 exec_lo, exec_lo, s22
.LBB14_332:
	s_delay_alu instid0(SALU_CYCLE_1)
	s_or_b32 exec_lo, exec_lo, s20
	s_mov_b32 s20, 0
	global_store_b8 v[2:3], v4, off
.LBB14_333:
	s_and_b32 vcc_lo, exec_lo, s20
	s_cbranch_vccz .LBB14_343
; %bb.334:
	s_wait_xcnt 0x0
	v_and_b32_e32 v4, 0x7fffffff, v0
	s_mov_b32 s20, exec_lo
                                        ; implicit-def: $vgpr1
	s_delay_alu instid0(VALU_DEP_1)
	v_cmpx_gt_u32_e32 0x43f00000, v4
	s_xor_b32 s20, exec_lo, s20
	s_cbranch_execz .LBB14_340
; %bb.335:
	s_mov_b32 s21, exec_lo
                                        ; implicit-def: $vgpr1
	v_cmpx_lt_u32_e32 0x3c7fffff, v4
	s_xor_b32 s21, exec_lo, s21
; %bb.336:
	v_bfe_u32 v1, v0, 20, 1
	s_delay_alu instid0(VALU_DEP_1) | instskip(NEXT) | instid1(VALU_DEP_1)
	v_add3_u32 v1, v0, v1, 0x407ffff
	v_and_b32_e32 v4, 0xff00000, v1
	v_lshrrev_b32_e32 v1, 20, v1
	s_delay_alu instid0(VALU_DEP_2) | instskip(NEXT) | instid1(VALU_DEP_2)
	v_cmp_ne_u32_e32 vcc_lo, 0x7f00000, v4
	v_cndmask_b32_e32 v1, 0x7e, v1, vcc_lo
; %bb.337:
	s_and_not1_saveexec_b32 s21, s21
; %bb.338:
	v_add_f32_e64 v1, 0x46800000, |v0|
; %bb.339:
	s_or_b32 exec_lo, exec_lo, s21
                                        ; implicit-def: $vgpr4
.LBB14_340:
	s_and_not1_saveexec_b32 s20, s20
; %bb.341:
	v_mov_b32_e32 v1, 0x7f
	v_cmp_lt_u32_e32 vcc_lo, 0x7f800000, v4
	s_delay_alu instid0(VALU_DEP_2)
	v_cndmask_b32_e32 v1, 0x7e, v1, vcc_lo
; %bb.342:
	s_or_b32 exec_lo, exec_lo, s20
	v_lshrrev_b32_e32 v4, 24, v0
	s_delay_alu instid0(VALU_DEP_1)
	v_and_or_b32 v1, 0x80, v4, v1
	global_store_b8 v[2:3], v1, off
.LBB14_343:
	s_mov_b32 s20, 0
.LBB14_344:
	s_delay_alu instid0(SALU_CYCLE_1)
	s_and_not1_b32 vcc_lo, exec_lo, s20
	s_cbranch_vccnz .LBB14_354
; %bb.345:
	s_wait_xcnt 0x0
	v_and_b32_e32 v4, 0x7fffffff, v0
	s_mov_b32 s20, exec_lo
                                        ; implicit-def: $vgpr1
	s_delay_alu instid0(VALU_DEP_1)
	v_cmpx_gt_u32_e32 0x47800000, v4
	s_xor_b32 s20, exec_lo, s20
	s_cbranch_execz .LBB14_351
; %bb.346:
	s_mov_b32 s21, exec_lo
                                        ; implicit-def: $vgpr1
	v_cmpx_lt_u32_e32 0x387fffff, v4
	s_xor_b32 s21, exec_lo, s21
; %bb.347:
	v_bfe_u32 v1, v0, 21, 1
	s_delay_alu instid0(VALU_DEP_1) | instskip(NEXT) | instid1(VALU_DEP_1)
	v_add3_u32 v1, v0, v1, 0x80fffff
	v_lshrrev_b32_e32 v1, 21, v1
; %bb.348:
	s_and_not1_saveexec_b32 s21, s21
; %bb.349:
	v_add_f32_e64 v1, 0x43000000, |v0|
; %bb.350:
	s_or_b32 exec_lo, exec_lo, s21
                                        ; implicit-def: $vgpr4
.LBB14_351:
	s_and_not1_saveexec_b32 s20, s20
; %bb.352:
	v_mov_b32_e32 v1, 0x7f
	v_cmp_lt_u32_e32 vcc_lo, 0x7f800000, v4
	s_delay_alu instid0(VALU_DEP_2)
	v_cndmask_b32_e32 v1, 0x7c, v1, vcc_lo
; %bb.353:
	s_or_b32 exec_lo, exec_lo, s20
	v_lshrrev_b32_e32 v4, 24, v0
	s_delay_alu instid0(VALU_DEP_1)
	v_and_or_b32 v1, 0x80, v4, v1
	global_store_b8 v[2:3], v1, off
.LBB14_354:
	s_mov_b32 s21, 0
	s_mov_b32 s20, -1
.LBB14_355:
	s_and_not1_b32 vcc_lo, exec_lo, s21
	s_cbranch_vccnz .LBB14_363
; %bb.356:
	s_cmp_gt_i32 s19, 14
	s_mov_b32 s21, -1
	s_cbranch_scc0 .LBB14_360
; %bb.357:
	s_cmp_eq_u32 s19, 15
	s_mov_b32 s0, -1
	s_cbranch_scc0 .LBB14_359
; %bb.358:
	s_wait_xcnt 0x0
	v_bfe_u32 v1, v0, 16, 1
	v_cmp_o_f32_e32 vcc_lo, v0, v0
	s_mov_b32 s20, -1
	s_mov_b32 s0, 0
	s_delay_alu instid0(VALU_DEP_2) | instskip(NEXT) | instid1(VALU_DEP_1)
	v_add3_u32 v1, v0, v1, 0x7fff
	v_lshrrev_b32_e32 v1, 16, v1
	s_delay_alu instid0(VALU_DEP_1)
	v_cndmask_b32_e32 v1, 0x7fc0, v1, vcc_lo
	global_store_b16 v[2:3], v1, off
.LBB14_359:
	s_mov_b32 s21, 0
.LBB14_360:
	s_delay_alu instid0(SALU_CYCLE_1)
	s_and_b32 vcc_lo, exec_lo, s21
	s_cbranch_vccz .LBB14_363
; %bb.361:
	s_cmp_eq_u32 s19, 11
	s_mov_b32 s0, -1
	s_cbranch_scc0 .LBB14_363
; %bb.362:
	v_cmp_neq_f32_e32 vcc_lo, 0, v0
	s_mov_b32 s0, 0
	s_mov_b32 s20, -1
	s_wait_xcnt 0x0
	v_cndmask_b32_e64 v1, 0, 1, vcc_lo
	global_store_b8 v[2:3], v1, off
.LBB14_363:
	s_mov_b32 s19, 0
.LBB14_364:
	s_delay_alu instid0(SALU_CYCLE_1)
	s_and_b32 vcc_lo, exec_lo, s19
	s_cbranch_vccz .LBB14_403
; %bb.365:
	s_and_b32 s17, 0xffff, s17
	s_mov_b32 s19, -1
	s_cmp_lt_i32 s17, 5
	s_cbranch_scc1 .LBB14_386
; %bb.366:
	s_cmp_lt_i32 s17, 8
	s_cbranch_scc1 .LBB14_376
; %bb.367:
	;; [unrolled: 3-line block ×3, first 2 shown]
	s_cmp_gt_i32 s17, 9
	s_cbranch_scc0 .LBB14_370
; %bb.369:
	s_wait_xcnt 0x0
	v_cvt_f64_f32_e32 v[4:5], v0
	v_mov_b32_e32 v6, 0
	s_mov_b32 s19, 0
	s_delay_alu instid0(VALU_DEP_1)
	v_mov_b32_e32 v7, v6
	global_store_b128 v[2:3], v[4:7], off
.LBB14_370:
	s_and_not1_b32 vcc_lo, exec_lo, s19
	s_cbranch_vccnz .LBB14_372
; %bb.371:
	s_wait_xcnt 0x0
	v_mov_b32_e32 v1, 0
	global_store_b64 v[2:3], v[0:1], off
.LBB14_372:
	s_mov_b32 s19, 0
.LBB14_373:
	s_delay_alu instid0(SALU_CYCLE_1)
	s_and_not1_b32 vcc_lo, exec_lo, s19
	s_cbranch_vccnz .LBB14_375
; %bb.374:
	s_wait_xcnt 0x0
	v_cvt_f16_f32_e32 v1, v0
	s_delay_alu instid0(VALU_DEP_1)
	v_and_b32_e32 v1, 0xffff, v1
	global_store_b32 v[2:3], v1, off
.LBB14_375:
	s_mov_b32 s19, 0
.LBB14_376:
	s_delay_alu instid0(SALU_CYCLE_1)
	s_and_not1_b32 vcc_lo, exec_lo, s19
	s_cbranch_vccnz .LBB14_385
; %bb.377:
	s_cmp_lt_i32 s17, 6
	s_mov_b32 s19, -1
	s_cbranch_scc1 .LBB14_383
; %bb.378:
	s_cmp_gt_i32 s17, 6
	s_cbranch_scc0 .LBB14_380
; %bb.379:
	s_wait_xcnt 0x0
	v_cvt_f64_f32_e32 v[4:5], v0
	s_mov_b32 s19, 0
	global_store_b64 v[2:3], v[4:5], off
.LBB14_380:
	s_and_not1_b32 vcc_lo, exec_lo, s19
	s_cbranch_vccnz .LBB14_382
; %bb.381:
	global_store_b32 v[2:3], v0, off
.LBB14_382:
	s_mov_b32 s19, 0
.LBB14_383:
	s_delay_alu instid0(SALU_CYCLE_1)
	s_and_not1_b32 vcc_lo, exec_lo, s19
	s_cbranch_vccnz .LBB14_385
; %bb.384:
	s_wait_xcnt 0x0
	v_cvt_f16_f32_e32 v1, v0
	global_store_b16 v[2:3], v1, off
.LBB14_385:
	s_mov_b32 s19, 0
.LBB14_386:
	s_delay_alu instid0(SALU_CYCLE_1)
	s_and_not1_b32 vcc_lo, exec_lo, s19
	s_cbranch_vccnz .LBB14_402
; %bb.387:
	s_cmp_lt_i32 s17, 2
	s_mov_b32 s19, -1
	s_cbranch_scc1 .LBB14_397
; %bb.388:
	s_cmp_lt_i32 s17, 3
	s_cbranch_scc1 .LBB14_394
; %bb.389:
	s_cmp_gt_i32 s17, 3
	s_cbranch_scc0 .LBB14_391
; %bb.390:
	s_wait_xcnt 0x0
	v_trunc_f32_e32 v1, v0
	s_mov_b32 s19, 0
	s_delay_alu instid0(VALU_DEP_1) | instskip(NEXT) | instid1(VALU_DEP_1)
	v_mul_f32_e64 v4, 0x2f800000, |v1|
	v_floor_f32_e32 v5, v4
	v_ashrrev_i32_e32 v4, 31, v1
	s_delay_alu instid0(VALU_DEP_2) | instskip(SKIP_1) | instid1(VALU_DEP_3)
	v_fma_f32 v6, 0xcf800000, v5, |v1|
	v_cvt_u32_f32_e32 v1, v5
	v_mov_b32_e32 v5, v4
	s_delay_alu instid0(VALU_DEP_3) | instskip(NEXT) | instid1(VALU_DEP_3)
	v_cvt_u32_f32_e32 v6, v6
	v_xor_b32_e32 v7, v1, v4
	s_delay_alu instid0(VALU_DEP_2) | instskip(NEXT) | instid1(VALU_DEP_1)
	v_xor_b32_e32 v6, v6, v4
	v_sub_nc_u64_e32 v[4:5], v[6:7], v[4:5]
	global_store_b64 v[2:3], v[4:5], off
.LBB14_391:
	s_and_not1_b32 vcc_lo, exec_lo, s19
	s_cbranch_vccnz .LBB14_393
; %bb.392:
	s_wait_xcnt 0x0
	v_cvt_i32_f32_e32 v1, v0
	global_store_b32 v[2:3], v1, off
.LBB14_393:
	s_mov_b32 s19, 0
.LBB14_394:
	s_delay_alu instid0(SALU_CYCLE_1)
	s_and_not1_b32 vcc_lo, exec_lo, s19
	s_cbranch_vccnz .LBB14_396
; %bb.395:
	s_wait_xcnt 0x0
	v_cvt_i32_f32_e32 v1, v0
	global_store_b16 v[2:3], v1, off
.LBB14_396:
	s_mov_b32 s19, 0
.LBB14_397:
	s_delay_alu instid0(SALU_CYCLE_1)
	s_and_not1_b32 vcc_lo, exec_lo, s19
	s_cbranch_vccnz .LBB14_402
; %bb.398:
	s_cmp_gt_i32 s17, 0
	s_mov_b32 s17, -1
	s_cbranch_scc0 .LBB14_400
; %bb.399:
	s_wait_xcnt 0x0
	v_cvt_i32_f32_e32 v1, v0
	s_mov_b32 s17, 0
	global_store_b8 v[2:3], v1, off
.LBB14_400:
	s_and_not1_b32 vcc_lo, exec_lo, s17
	s_cbranch_vccnz .LBB14_402
; %bb.401:
	s_wait_xcnt 0x0
	v_trunc_f32_e32 v0, v0
	s_delay_alu instid0(VALU_DEP_1) | instskip(NEXT) | instid1(VALU_DEP_1)
	v_mul_f32_e64 v1, 0x2f800000, |v0|
	v_floor_f32_e32 v1, v1
	s_delay_alu instid0(VALU_DEP_1) | instskip(SKIP_1) | instid1(VALU_DEP_2)
	v_fma_f32 v1, 0xcf800000, v1, |v0|
	v_ashrrev_i32_e32 v0, 31, v0
	v_cvt_u32_f32_e32 v1, v1
	s_delay_alu instid0(VALU_DEP_1) | instskip(NEXT) | instid1(VALU_DEP_1)
	v_xor_b32_e32 v1, v1, v0
	v_sub_nc_u32_e32 v0, v1, v0
	global_store_b8 v[2:3], v0, off
.LBB14_402:
	s_mov_b32 s20, -1
.LBB14_403:
	s_delay_alu instid0(SALU_CYCLE_1)
	s_and_not1_b32 vcc_lo, exec_lo, s20
	s_cbranch_vccnz .LBB14_405
; %bb.404:
	v_add_nc_u32_e32 v8, 0x80, v8
	s_mov_b32 s19, -1
	s_branch .LBB14_518
.LBB14_405:
	s_mov_b32 s19, 0
	s_branch .LBB14_517
.LBB14_406:
	s_mov_b32 s16, -1
                                        ; implicit-def: $vgpr2
.LBB14_407:
	s_mov_b32 s19, 0
.LBB14_408:
	s_delay_alu instid0(SALU_CYCLE_1)
	s_and_b32 vcc_lo, exec_lo, s19
	s_cbranch_vccz .LBB14_412
; %bb.409:
	s_cmp_eq_u32 s0, 29
	s_cbranch_scc0 .LBB14_411
; %bb.410:
	s_wait_loadcnt 0x0
	global_load_b64 v[2:3], v[0:1], off
	s_mov_b32 s17, -1
	s_mov_b32 s16, 0
	s_mov_b32 s19, 0
	s_wait_loadcnt 0x0
	v_clz_i32_u32_e32 v4, v3
	s_delay_alu instid0(VALU_DEP_1) | instskip(NEXT) | instid1(VALU_DEP_1)
	v_min_u32_e32 v4, 32, v4
	v_lshlrev_b64_e32 v[2:3], v4, v[2:3]
	s_delay_alu instid0(VALU_DEP_1) | instskip(NEXT) | instid1(VALU_DEP_1)
	v_min_u32_e32 v2, 1, v2
	v_dual_sub_nc_u32 v3, 32, v4 :: v_dual_bitop2_b32 v2, v3, v2 bitop3:0x54
	s_delay_alu instid0(VALU_DEP_1) | instskip(NEXT) | instid1(VALU_DEP_1)
	v_cvt_f32_u32_e32 v2, v2
	v_ldexp_f32 v2, v2, v3
	s_branch .LBB14_413
.LBB14_411:
	s_mov_b32 s16, -1
                                        ; implicit-def: $vgpr2
.LBB14_412:
	s_mov_b32 s19, 0
.LBB14_413:
	s_delay_alu instid0(SALU_CYCLE_1)
	s_and_b32 vcc_lo, exec_lo, s19
	s_cbranch_vccz .LBB14_431
; %bb.414:
	s_cmp_lt_i32 s0, 27
	s_cbranch_scc1 .LBB14_417
; %bb.415:
	s_cmp_gt_i32 s0, 27
	s_cbranch_scc0 .LBB14_418
; %bb.416:
	s_wait_loadcnt 0x0
	global_load_b32 v2, v[0:1], off
	s_mov_b32 s17, 0
	s_wait_loadcnt 0x0
	v_cvt_f32_u32_e32 v2, v2
	s_branch .LBB14_419
.LBB14_417:
	s_mov_b32 s17, -1
                                        ; implicit-def: $vgpr2
	s_branch .LBB14_422
.LBB14_418:
	s_mov_b32 s17, -1
                                        ; implicit-def: $vgpr2
.LBB14_419:
	s_delay_alu instid0(SALU_CYCLE_1)
	s_and_not1_b32 vcc_lo, exec_lo, s17
	s_cbranch_vccnz .LBB14_421
; %bb.420:
	s_wait_loadcnt 0x0
	global_load_u16 v2, v[0:1], off
	s_wait_loadcnt 0x0
	v_cvt_f32_u32_e32 v2, v2
.LBB14_421:
	s_mov_b32 s17, 0
.LBB14_422:
	s_delay_alu instid0(SALU_CYCLE_1)
	s_and_not1_b32 vcc_lo, exec_lo, s17
	s_cbranch_vccnz .LBB14_430
; %bb.423:
	global_load_u8 v3, v[0:1], off
	s_mov_b32 s17, 0
	s_mov_b32 s19, exec_lo
	s_wait_loadcnt 0x0
	v_cmpx_lt_i16_e32 0x7f, v3
	s_xor_b32 s19, exec_lo, s19
	s_cbranch_execz .LBB14_444
; %bb.424:
	s_mov_b32 s17, -1
	s_mov_b32 s20, exec_lo
	v_cmpx_eq_u16_e32 0x80, v3
; %bb.425:
	s_xor_b32 s17, exec_lo, -1
; %bb.426:
	s_or_b32 exec_lo, exec_lo, s20
	s_delay_alu instid0(SALU_CYCLE_1)
	s_and_b32 s17, s17, exec_lo
	s_or_saveexec_b32 s19, s19
	v_mov_b32_e32 v2, 0x7f800001
	s_xor_b32 exec_lo, exec_lo, s19
	s_cbranch_execnz .LBB14_445
.LBB14_427:
	s_or_b32 exec_lo, exec_lo, s19
	s_and_saveexec_b32 s19, s17
	s_cbranch_execz .LBB14_429
.LBB14_428:
	v_and_b32_e32 v2, 0xffff, v3
	s_delay_alu instid0(VALU_DEP_1) | instskip(SKIP_1) | instid1(VALU_DEP_2)
	v_and_b32_e32 v4, 7, v2
	v_bfe_u32 v7, v2, 3, 4
	v_clz_i32_u32_e32 v5, v4
	s_delay_alu instid0(VALU_DEP_2) | instskip(NEXT) | instid1(VALU_DEP_2)
	v_cmp_eq_u32_e32 vcc_lo, 0, v7
	v_min_u32_e32 v5, 32, v5
	s_delay_alu instid0(VALU_DEP_1) | instskip(NEXT) | instid1(VALU_DEP_1)
	v_subrev_nc_u32_e32 v6, 28, v5
	v_dual_lshlrev_b32 v2, v6, v2 :: v_dual_sub_nc_u32 v5, 29, v5
	s_delay_alu instid0(VALU_DEP_1) | instskip(NEXT) | instid1(VALU_DEP_1)
	v_dual_lshlrev_b32 v3, 24, v3 :: v_dual_bitop2_b32 v2, 7, v2 bitop3:0x40
	v_dual_cndmask_b32 v5, v7, v5 :: v_dual_cndmask_b32 v2, v4, v2
	s_delay_alu instid0(VALU_DEP_2) | instskip(NEXT) | instid1(VALU_DEP_2)
	v_and_b32_e32 v3, 0x80000000, v3
	v_lshl_add_u32 v4, v5, 23, 0x3b800000
	s_delay_alu instid0(VALU_DEP_3) | instskip(NEXT) | instid1(VALU_DEP_1)
	v_lshlrev_b32_e32 v2, 20, v2
	v_or3_b32 v2, v3, v4, v2
.LBB14_429:
	s_or_b32 exec_lo, exec_lo, s19
.LBB14_430:
	s_mov_b32 s17, -1
.LBB14_431:
	s_mov_b32 s19, 0
.LBB14_432:
	s_delay_alu instid0(SALU_CYCLE_1)
	s_and_b32 vcc_lo, exec_lo, s19
	s_cbranch_vccz .LBB14_467
; %bb.433:
	s_cmp_gt_i32 s0, 22
	s_cbranch_scc0 .LBB14_443
; %bb.434:
	s_cmp_lt_i32 s0, 24
	s_cbranch_scc1 .LBB14_446
; %bb.435:
	s_cmp_gt_i32 s0, 24
	s_cbranch_scc0 .LBB14_447
; %bb.436:
	global_load_u8 v3, v[0:1], off
	s_mov_b32 s17, 0
	s_mov_b32 s19, exec_lo
	s_wait_loadcnt 0x0
	v_cmpx_lt_i16_e32 0x7f, v3
	s_xor_b32 s19, exec_lo, s19
	s_cbranch_execz .LBB14_459
; %bb.437:
	s_mov_b32 s17, -1
	s_mov_b32 s20, exec_lo
	v_cmpx_eq_u16_e32 0x80, v3
; %bb.438:
	s_xor_b32 s17, exec_lo, -1
; %bb.439:
	s_or_b32 exec_lo, exec_lo, s20
	s_delay_alu instid0(SALU_CYCLE_1)
	s_and_b32 s17, s17, exec_lo
	s_or_saveexec_b32 s19, s19
	v_mov_b32_e32 v2, 0x7f800001
	s_xor_b32 exec_lo, exec_lo, s19
	s_cbranch_execnz .LBB14_460
.LBB14_440:
	s_or_b32 exec_lo, exec_lo, s19
	s_and_saveexec_b32 s19, s17
	s_cbranch_execz .LBB14_442
.LBB14_441:
	v_and_b32_e32 v2, 0xffff, v3
	s_delay_alu instid0(VALU_DEP_1) | instskip(SKIP_1) | instid1(VALU_DEP_2)
	v_and_b32_e32 v4, 3, v2
	v_bfe_u32 v7, v2, 2, 5
	v_clz_i32_u32_e32 v5, v4
	s_delay_alu instid0(VALU_DEP_2) | instskip(NEXT) | instid1(VALU_DEP_2)
	v_cmp_eq_u32_e32 vcc_lo, 0, v7
	v_min_u32_e32 v5, 32, v5
	s_delay_alu instid0(VALU_DEP_1) | instskip(NEXT) | instid1(VALU_DEP_1)
	v_subrev_nc_u32_e32 v6, 29, v5
	v_dual_lshlrev_b32 v2, v6, v2 :: v_dual_sub_nc_u32 v5, 30, v5
	s_delay_alu instid0(VALU_DEP_1) | instskip(NEXT) | instid1(VALU_DEP_1)
	v_dual_lshlrev_b32 v3, 24, v3 :: v_dual_bitop2_b32 v2, 3, v2 bitop3:0x40
	v_dual_cndmask_b32 v5, v7, v5 :: v_dual_cndmask_b32 v2, v4, v2
	s_delay_alu instid0(VALU_DEP_2) | instskip(NEXT) | instid1(VALU_DEP_2)
	v_and_b32_e32 v3, 0x80000000, v3
	v_lshl_add_u32 v4, v5, 23, 0x37800000
	s_delay_alu instid0(VALU_DEP_3) | instskip(NEXT) | instid1(VALU_DEP_1)
	v_lshlrev_b32_e32 v2, 21, v2
	v_or3_b32 v2, v3, v4, v2
.LBB14_442:
	s_or_b32 exec_lo, exec_lo, s19
	s_mov_b32 s17, 0
	s_branch .LBB14_448
.LBB14_443:
	s_mov_b32 s19, -1
                                        ; implicit-def: $vgpr2
	s_branch .LBB14_454
.LBB14_444:
	s_or_saveexec_b32 s19, s19
	v_mov_b32_e32 v2, 0x7f800001
	s_xor_b32 exec_lo, exec_lo, s19
	s_cbranch_execz .LBB14_427
.LBB14_445:
	v_cmp_ne_u16_e32 vcc_lo, 0, v3
	v_mov_b32_e32 v2, 0
	s_and_not1_b32 s17, s17, exec_lo
	s_and_b32 s20, vcc_lo, exec_lo
	s_delay_alu instid0(SALU_CYCLE_1)
	s_or_b32 s17, s17, s20
	s_or_b32 exec_lo, exec_lo, s19
	s_and_saveexec_b32 s19, s17
	s_cbranch_execnz .LBB14_428
	s_branch .LBB14_429
.LBB14_446:
	s_mov_b32 s17, -1
                                        ; implicit-def: $vgpr2
	s_branch .LBB14_451
.LBB14_447:
	s_mov_b32 s17, -1
                                        ; implicit-def: $vgpr2
.LBB14_448:
	s_delay_alu instid0(SALU_CYCLE_1)
	s_and_b32 vcc_lo, exec_lo, s17
	s_cbranch_vccz .LBB14_450
; %bb.449:
	s_wait_loadcnt 0x0
	global_load_u8 v2, v[0:1], off
	s_wait_loadcnt 0x0
	v_lshlrev_b32_e32 v2, 24, v2
	s_delay_alu instid0(VALU_DEP_1) | instskip(NEXT) | instid1(VALU_DEP_1)
	v_and_b32_e32 v3, 0x7f000000, v2
	v_clz_i32_u32_e32 v4, v3
	v_cmp_ne_u32_e32 vcc_lo, 0, v3
	v_add_nc_u32_e32 v6, 0x1000000, v3
	s_delay_alu instid0(VALU_DEP_3) | instskip(NEXT) | instid1(VALU_DEP_1)
	v_min_u32_e32 v4, 32, v4
	v_sub_nc_u32_e64 v4, v4, 4 clamp
	s_delay_alu instid0(VALU_DEP_1) | instskip(NEXT) | instid1(VALU_DEP_1)
	v_dual_lshlrev_b32 v5, v4, v3 :: v_dual_lshlrev_b32 v4, 23, v4
	v_lshrrev_b32_e32 v5, 4, v5
	s_delay_alu instid0(VALU_DEP_1) | instskip(NEXT) | instid1(VALU_DEP_1)
	v_dual_sub_nc_u32 v4, v5, v4 :: v_dual_ashrrev_i32 v5, 8, v6
	v_add_nc_u32_e32 v4, 0x3c000000, v4
	s_delay_alu instid0(VALU_DEP_1) | instskip(NEXT) | instid1(VALU_DEP_1)
	v_and_or_b32 v4, 0x7f800000, v5, v4
	v_cndmask_b32_e32 v3, 0, v4, vcc_lo
	s_delay_alu instid0(VALU_DEP_1)
	v_and_or_b32 v2, 0x80000000, v2, v3
.LBB14_450:
	s_mov_b32 s17, 0
.LBB14_451:
	s_delay_alu instid0(SALU_CYCLE_1)
	s_and_not1_b32 vcc_lo, exec_lo, s17
	s_cbranch_vccnz .LBB14_453
; %bb.452:
	s_wait_loadcnt 0x0
	global_load_u8 v2, v[0:1], off
	s_wait_loadcnt 0x0
	v_lshlrev_b32_e32 v3, 25, v2
	v_lshlrev_b16 v2, 8, v2
	s_delay_alu instid0(VALU_DEP_1) | instskip(SKIP_1) | instid1(VALU_DEP_2)
	v_and_or_b32 v5, 0x7f00, v2, 0.5
	v_bfe_i32 v2, v2, 0, 16
	v_dual_add_f32 v5, -0.5, v5 :: v_dual_lshrrev_b32 v4, 4, v3
	v_cmp_gt_u32_e32 vcc_lo, 0x8000000, v3
	s_delay_alu instid0(VALU_DEP_2) | instskip(NEXT) | instid1(VALU_DEP_1)
	v_or_b32_e32 v4, 0x70000000, v4
	v_mul_f32_e32 v4, 0x7800000, v4
	s_delay_alu instid0(VALU_DEP_1) | instskip(NEXT) | instid1(VALU_DEP_1)
	v_cndmask_b32_e32 v3, v4, v5, vcc_lo
	v_and_or_b32 v2, 0x80000000, v2, v3
.LBB14_453:
	s_mov_b32 s19, 0
	s_mov_b32 s17, -1
.LBB14_454:
	s_and_not1_b32 vcc_lo, exec_lo, s19
	s_cbranch_vccnz .LBB14_467
; %bb.455:
	s_cmp_gt_i32 s0, 14
	s_cbranch_scc0 .LBB14_458
; %bb.456:
	s_cmp_eq_u32 s0, 15
	s_cbranch_scc0 .LBB14_461
; %bb.457:
	s_wait_loadcnt 0x0
	global_load_u16 v2, v[0:1], off
	s_mov_b32 s17, -1
	s_mov_b32 s16, 0
	s_wait_loadcnt 0x0
	v_lshlrev_b32_e32 v2, 16, v2
	s_branch .LBB14_462
.LBB14_458:
	s_mov_b32 s19, -1
                                        ; implicit-def: $vgpr2
	s_branch .LBB14_463
.LBB14_459:
	s_or_saveexec_b32 s19, s19
	v_mov_b32_e32 v2, 0x7f800001
	s_xor_b32 exec_lo, exec_lo, s19
	s_cbranch_execz .LBB14_440
.LBB14_460:
	v_cmp_ne_u16_e32 vcc_lo, 0, v3
	v_mov_b32_e32 v2, 0
	s_and_not1_b32 s17, s17, exec_lo
	s_and_b32 s20, vcc_lo, exec_lo
	s_delay_alu instid0(SALU_CYCLE_1)
	s_or_b32 s17, s17, s20
	s_or_b32 exec_lo, exec_lo, s19
	s_and_saveexec_b32 s19, s17
	s_cbranch_execnz .LBB14_441
	s_branch .LBB14_442
.LBB14_461:
	s_mov_b32 s16, -1
                                        ; implicit-def: $vgpr2
.LBB14_462:
	s_mov_b32 s19, 0
.LBB14_463:
	s_delay_alu instid0(SALU_CYCLE_1)
	s_and_b32 vcc_lo, exec_lo, s19
	s_cbranch_vccz .LBB14_467
; %bb.464:
	s_cmp_eq_u32 s0, 11
	s_cbranch_scc0 .LBB14_466
; %bb.465:
	s_wait_loadcnt 0x0
	global_load_u8 v2, v[0:1], off
	s_mov_b32 s16, 0
	s_mov_b32 s17, -1
	s_wait_loadcnt 0x0
	v_cmp_ne_u16_e32 vcc_lo, 0, v2
	v_cndmask_b32_e64 v2, 0, 1.0, vcc_lo
	s_branch .LBB14_467
.LBB14_466:
	s_mov_b32 s16, -1
                                        ; implicit-def: $vgpr2
.LBB14_467:
	s_branch .LBB14_267
.LBB14_468:
	s_cmp_lt_i32 s0, 5
	s_cbranch_scc1 .LBB14_473
; %bb.469:
	s_cmp_lt_i32 s0, 8
	s_cbranch_scc1 .LBB14_474
; %bb.470:
	;; [unrolled: 3-line block ×3, first 2 shown]
	s_cmp_gt_i32 s0, 9
	s_cbranch_scc0 .LBB14_476
; %bb.472:
	s_wait_loadcnt 0x0
	global_load_b64 v[2:3], v[0:1], off
	s_mov_b32 s17, 0
	s_wait_loadcnt 0x0
	v_cvt_f32_f64_e32 v2, v[2:3]
	s_branch .LBB14_477
.LBB14_473:
	s_mov_b32 s17, -1
                                        ; implicit-def: $vgpr2
	s_branch .LBB14_495
.LBB14_474:
	s_mov_b32 s17, -1
                                        ; implicit-def: $vgpr2
	s_branch .LBB14_483
.LBB14_475:
	s_mov_b32 s17, -1
                                        ; implicit-def: $vgpr2
	s_branch .LBB14_480
.LBB14_476:
	s_mov_b32 s17, -1
                                        ; implicit-def: $vgpr2
.LBB14_477:
	s_delay_alu instid0(SALU_CYCLE_1)
	s_and_not1_b32 vcc_lo, exec_lo, s17
	s_cbranch_vccnz .LBB14_479
; %bb.478:
	s_wait_loadcnt 0x0
	global_load_b32 v2, v[0:1], off
.LBB14_479:
	s_mov_b32 s17, 0
.LBB14_480:
	s_delay_alu instid0(SALU_CYCLE_1)
	s_and_not1_b32 vcc_lo, exec_lo, s17
	s_cbranch_vccnz .LBB14_482
; %bb.481:
	s_wait_loadcnt 0x0
	global_load_b32 v2, v[0:1], off
	s_wait_loadcnt 0x0
	v_cvt_f32_f16_e32 v2, v2
.LBB14_482:
	s_mov_b32 s17, 0
.LBB14_483:
	s_delay_alu instid0(SALU_CYCLE_1)
	s_and_not1_b32 vcc_lo, exec_lo, s17
	s_cbranch_vccnz .LBB14_494
; %bb.484:
	s_cmp_lt_i32 s0, 6
	s_cbranch_scc1 .LBB14_487
; %bb.485:
	s_cmp_gt_i32 s0, 6
	s_cbranch_scc0 .LBB14_488
; %bb.486:
	s_wait_loadcnt 0x0
	global_load_b64 v[2:3], v[0:1], off
	s_mov_b32 s17, 0
	s_wait_loadcnt 0x0
	v_cvt_f32_f64_e32 v2, v[2:3]
	s_branch .LBB14_489
.LBB14_487:
	s_mov_b32 s17, -1
                                        ; implicit-def: $vgpr2
	s_branch .LBB14_492
.LBB14_488:
	s_mov_b32 s17, -1
                                        ; implicit-def: $vgpr2
.LBB14_489:
	s_delay_alu instid0(SALU_CYCLE_1)
	s_and_not1_b32 vcc_lo, exec_lo, s17
	s_cbranch_vccnz .LBB14_491
; %bb.490:
	s_wait_loadcnt 0x0
	global_load_b32 v2, v[0:1], off
.LBB14_491:
	s_mov_b32 s17, 0
.LBB14_492:
	s_delay_alu instid0(SALU_CYCLE_1)
	s_and_not1_b32 vcc_lo, exec_lo, s17
	s_cbranch_vccnz .LBB14_494
; %bb.493:
	s_wait_loadcnt 0x0
	global_load_u16 v2, v[0:1], off
	s_wait_loadcnt 0x0
	v_cvt_f32_f16_e32 v2, v2
.LBB14_494:
	s_mov_b32 s17, 0
.LBB14_495:
	s_delay_alu instid0(SALU_CYCLE_1)
	s_and_not1_b32 vcc_lo, exec_lo, s17
	s_cbranch_vccnz .LBB14_515
; %bb.496:
	s_cmp_lt_i32 s0, 2
	s_cbranch_scc1 .LBB14_500
; %bb.497:
	s_cmp_lt_i32 s0, 3
	s_cbranch_scc1 .LBB14_501
; %bb.498:
	s_cmp_gt_i32 s0, 3
	s_cbranch_scc0 .LBB14_502
; %bb.499:
	s_wait_loadcnt 0x0
	global_load_b64 v[2:3], v[0:1], off
	s_mov_b32 s17, 0
	s_wait_loadcnt 0x0
	v_xor_b32_e32 v4, v2, v3
	v_cls_i32_e32 v5, v3
	s_delay_alu instid0(VALU_DEP_2) | instskip(NEXT) | instid1(VALU_DEP_1)
	v_ashrrev_i32_e32 v4, 31, v4
	v_add_nc_u32_e32 v4, 32, v4
	s_delay_alu instid0(VALU_DEP_1) | instskip(NEXT) | instid1(VALU_DEP_1)
	v_add_min_u32_e64 v4, v5, -1, v4
	v_lshlrev_b64_e32 v[2:3], v4, v[2:3]
	s_delay_alu instid0(VALU_DEP_1) | instskip(NEXT) | instid1(VALU_DEP_1)
	v_min_u32_e32 v2, 1, v2
	v_dual_sub_nc_u32 v3, 32, v4 :: v_dual_bitop2_b32 v2, v3, v2 bitop3:0x54
	s_delay_alu instid0(VALU_DEP_1) | instskip(NEXT) | instid1(VALU_DEP_1)
	v_cvt_f32_i32_e32 v2, v2
	v_ldexp_f32 v2, v2, v3
	s_branch .LBB14_503
.LBB14_500:
	s_mov_b32 s17, -1
                                        ; implicit-def: $vgpr2
	s_branch .LBB14_509
.LBB14_501:
	s_mov_b32 s17, -1
                                        ; implicit-def: $vgpr2
	s_branch .LBB14_506
.LBB14_502:
	s_mov_b32 s17, -1
                                        ; implicit-def: $vgpr2
.LBB14_503:
	s_delay_alu instid0(SALU_CYCLE_1)
	s_and_not1_b32 vcc_lo, exec_lo, s17
	s_cbranch_vccnz .LBB14_505
; %bb.504:
	s_wait_loadcnt 0x0
	global_load_b32 v2, v[0:1], off
	s_wait_loadcnt 0x0
	v_cvt_f32_i32_e32 v2, v2
.LBB14_505:
	s_mov_b32 s17, 0
.LBB14_506:
	s_delay_alu instid0(SALU_CYCLE_1)
	s_and_not1_b32 vcc_lo, exec_lo, s17
	s_cbranch_vccnz .LBB14_508
; %bb.507:
	s_wait_loadcnt 0x0
	global_load_i16 v2, v[0:1], off
	s_wait_loadcnt 0x0
	v_cvt_f32_i32_e32 v2, v2
.LBB14_508:
	s_mov_b32 s17, 0
.LBB14_509:
	s_delay_alu instid0(SALU_CYCLE_1)
	s_and_not1_b32 vcc_lo, exec_lo, s17
	s_cbranch_vccnz .LBB14_515
; %bb.510:
	s_cmp_gt_i32 s0, 0
	s_mov_b32 s0, 0
	s_cbranch_scc0 .LBB14_512
; %bb.511:
	s_wait_loadcnt 0x0
	global_load_i8 v2, v[0:1], off
	s_wait_loadcnt 0x0
	v_cvt_f32_i32_e32 v2, v2
	s_branch .LBB14_513
.LBB14_512:
	s_mov_b32 s0, -1
                                        ; implicit-def: $vgpr2
.LBB14_513:
	s_delay_alu instid0(SALU_CYCLE_1)
	s_and_not1_b32 vcc_lo, exec_lo, s0
	s_cbranch_vccnz .LBB14_515
; %bb.514:
	global_load_u8 v0, v[0:1], off
	s_wait_loadcnt 0x0
	v_cvt_f32_ubyte0_e32 v2, v0
.LBB14_515:
	s_branch .LBB14_268
.LBB14_516:
	s_mov_b32 s19, 0
	s_mov_b32 s0, s12
.LBB14_517:
                                        ; implicit-def: $vgpr8
.LBB14_518:
	s_and_not1_b32 s17, s12, exec_lo
	s_and_b32 s0, s0, exec_lo
	s_and_not1_b32 s20, s14, exec_lo
	s_and_b32 s16, s16, exec_lo
	s_or_b32 s17, s17, s0
	s_or_b32 s16, s20, s16
	s_or_not1_b32 s0, s19, exec_lo
.LBB14_519:
	s_wait_xcnt 0x0
	s_or_b32 exec_lo, exec_lo, s18
	s_mov_b32 s19, 0
	s_mov_b32 s20, 0
	;; [unrolled: 1-line block ×3, first 2 shown]
                                        ; implicit-def: $vgpr0_vgpr1
                                        ; implicit-def: $vgpr4
	s_and_saveexec_b32 s18, s0
	s_cbranch_execz .LBB14_868
; %bb.520:
	s_mov_b32 s21, -1
	s_mov_b32 s0, s16
	s_mov_b32 s20, s17
	s_mov_b32 s19, exec_lo
	v_cmpx_gt_i32_e64 s13, v8
	s_cbranch_execz .LBB14_782
; %bb.521:
	v_mul_lo_u32 v0, v8, s9
	s_and_b32 s0, 0xffff, s2
	s_delay_alu instid0(SALU_CYCLE_1) | instskip(NEXT) | instid1(VALU_DEP_1)
	s_cmp_lt_i32 s0, 11
	v_ashrrev_i32_e32 v1, 31, v0
	s_delay_alu instid0(VALU_DEP_1)
	v_add_nc_u64_e32 v[0:1], s[6:7], v[0:1]
	s_cbranch_scc1 .LBB14_528
; %bb.522:
	s_cmp_gt_i32 s0, 25
	s_cbranch_scc0 .LBB14_529
; %bb.523:
	s_cmp_gt_i32 s0, 28
	s_cbranch_scc0 .LBB14_530
	;; [unrolled: 3-line block ×4, first 2 shown]
; %bb.526:
	s_cmp_eq_u32 s0, 46
	s_mov_b32 s22, 0
	s_cbranch_scc0 .LBB14_537
; %bb.527:
	s_wait_loadcnt 0x0
	global_load_b32 v2, v[0:1], off
	s_mov_b32 s20, 0
	s_wait_loadcnt 0x0
	v_lshlrev_b32_e32 v2, 16, v2
	s_branch .LBB14_539
.LBB14_528:
	s_mov_b32 s22, -1
	s_mov_b32 s21, 0
	s_mov_b32 s20, s16
                                        ; implicit-def: $vgpr2
	s_branch .LBB14_604
.LBB14_529:
	s_mov_b32 s22, -1
	s_mov_b32 s21, 0
	s_mov_b32 s20, s16
                                        ; implicit-def: $vgpr2
	s_branch .LBB14_568
.LBB14_530:
	s_mov_b32 s22, -1
	s_mov_b32 s21, 0
	s_mov_b32 s20, s16
                                        ; implicit-def: $vgpr2
	s_branch .LBB14_549
.LBB14_531:
	s_mov_b32 s22, -1
	s_mov_b32 s21, 0
	s_mov_b32 s20, s16
                                        ; implicit-def: $vgpr2
	s_branch .LBB14_544
.LBB14_532:
	s_and_not1_saveexec_b32 s22, s22
	s_cbranch_execz .LBB14_316
.LBB14_533:
	v_add_f32_e64 v1, 0x46000000, |v0|
	s_and_not1_b32 s21, s21, exec_lo
	s_delay_alu instid0(VALU_DEP_1) | instskip(NEXT) | instid1(VALU_DEP_1)
	v_and_b32_e32 v1, 0xff, v1
	v_cmp_ne_u32_e32 vcc_lo, 0, v1
	s_and_b32 s23, vcc_lo, exec_lo
	s_delay_alu instid0(SALU_CYCLE_1)
	s_or_b32 s21, s21, s23
	s_or_b32 exec_lo, exec_lo, s22
	v_mov_b32_e32 v4, 0
	s_and_saveexec_b32 s22, s21
	s_cbranch_execnz .LBB14_317
	s_branch .LBB14_318
.LBB14_534:
	s_mov_b32 s22, -1
	s_mov_b32 s21, 0
	s_mov_b32 s20, s16
	s_branch .LBB14_538
.LBB14_535:
	s_and_not1_saveexec_b32 s22, s22
	s_cbranch_execz .LBB14_329
.LBB14_536:
	v_add_f32_e64 v1, 0x42800000, |v0|
	s_and_not1_b32 s21, s21, exec_lo
	s_delay_alu instid0(VALU_DEP_1) | instskip(NEXT) | instid1(VALU_DEP_1)
	v_and_b32_e32 v1, 0xff, v1
	v_cmp_ne_u32_e32 vcc_lo, 0, v1
	s_and_b32 s23, vcc_lo, exec_lo
	s_delay_alu instid0(SALU_CYCLE_1)
	s_or_b32 s21, s21, s23
	s_or_b32 exec_lo, exec_lo, s22
	v_mov_b32_e32 v4, 0
	s_and_saveexec_b32 s22, s21
	s_cbranch_execnz .LBB14_330
	s_branch .LBB14_331
.LBB14_537:
	s_mov_b32 s20, -1
	s_mov_b32 s21, 0
.LBB14_538:
                                        ; implicit-def: $vgpr2
.LBB14_539:
	s_and_b32 vcc_lo, exec_lo, s22
	s_cbranch_vccz .LBB14_543
; %bb.540:
	s_cmp_eq_u32 s0, 44
	s_cbranch_scc0 .LBB14_542
; %bb.541:
	s_wait_loadcnt 0x0
	global_load_u8 v2, v[0:1], off
	s_mov_b32 s20, 0
	s_mov_b32 s21, -1
	s_wait_loadcnt 0x0
	v_lshlrev_b32_e32 v3, 23, v2
	v_cmp_ne_u32_e32 vcc_lo, 0xff, v2
	s_delay_alu instid0(VALU_DEP_2) | instskip(SKIP_1) | instid1(VALU_DEP_2)
	v_cndmask_b32_e32 v3, 0x7f800001, v3, vcc_lo
	v_cmp_ne_u32_e32 vcc_lo, 0, v2
	v_cndmask_b32_e32 v2, 0x400000, v3, vcc_lo
	s_branch .LBB14_543
.LBB14_542:
	s_mov_b32 s20, -1
                                        ; implicit-def: $vgpr2
.LBB14_543:
	s_mov_b32 s22, 0
.LBB14_544:
	s_delay_alu instid0(SALU_CYCLE_1)
	s_and_b32 vcc_lo, exec_lo, s22
	s_cbranch_vccz .LBB14_548
; %bb.545:
	s_cmp_eq_u32 s0, 29
	s_cbranch_scc0 .LBB14_547
; %bb.546:
	s_wait_loadcnt 0x0
	global_load_b64 v[2:3], v[0:1], off
	s_mov_b32 s21, -1
	s_mov_b32 s20, 0
	s_mov_b32 s22, 0
	s_wait_loadcnt 0x0
	v_clz_i32_u32_e32 v4, v3
	s_delay_alu instid0(VALU_DEP_1) | instskip(NEXT) | instid1(VALU_DEP_1)
	v_min_u32_e32 v4, 32, v4
	v_lshlrev_b64_e32 v[2:3], v4, v[2:3]
	s_delay_alu instid0(VALU_DEP_1) | instskip(NEXT) | instid1(VALU_DEP_1)
	v_min_u32_e32 v2, 1, v2
	v_dual_sub_nc_u32 v3, 32, v4 :: v_dual_bitop2_b32 v2, v3, v2 bitop3:0x54
	s_delay_alu instid0(VALU_DEP_1) | instskip(NEXT) | instid1(VALU_DEP_1)
	v_cvt_f32_u32_e32 v2, v2
	v_ldexp_f32 v2, v2, v3
	s_branch .LBB14_549
.LBB14_547:
	s_mov_b32 s20, -1
                                        ; implicit-def: $vgpr2
.LBB14_548:
	s_mov_b32 s22, 0
.LBB14_549:
	s_delay_alu instid0(SALU_CYCLE_1)
	s_and_b32 vcc_lo, exec_lo, s22
	s_cbranch_vccz .LBB14_567
; %bb.550:
	s_cmp_lt_i32 s0, 27
	s_cbranch_scc1 .LBB14_553
; %bb.551:
	s_cmp_gt_i32 s0, 27
	s_cbranch_scc0 .LBB14_554
; %bb.552:
	s_wait_loadcnt 0x0
	global_load_b32 v2, v[0:1], off
	s_mov_b32 s21, 0
	s_wait_loadcnt 0x0
	v_cvt_f32_u32_e32 v2, v2
	s_branch .LBB14_555
.LBB14_553:
	s_mov_b32 s21, -1
                                        ; implicit-def: $vgpr2
	s_branch .LBB14_558
.LBB14_554:
	s_mov_b32 s21, -1
                                        ; implicit-def: $vgpr2
.LBB14_555:
	s_delay_alu instid0(SALU_CYCLE_1)
	s_and_not1_b32 vcc_lo, exec_lo, s21
	s_cbranch_vccnz .LBB14_557
; %bb.556:
	s_wait_loadcnt 0x0
	global_load_u16 v2, v[0:1], off
	s_wait_loadcnt 0x0
	v_cvt_f32_u32_e32 v2, v2
.LBB14_557:
	s_mov_b32 s21, 0
.LBB14_558:
	s_delay_alu instid0(SALU_CYCLE_1)
	s_and_not1_b32 vcc_lo, exec_lo, s21
	s_cbranch_vccnz .LBB14_566
; %bb.559:
	global_load_u8 v3, v[0:1], off
	s_mov_b32 s21, 0
	s_mov_b32 s22, exec_lo
	s_wait_loadcnt 0x0
	v_cmpx_lt_i16_e32 0x7f, v3
	s_xor_b32 s22, exec_lo, s22
	s_cbranch_execz .LBB14_580
; %bb.560:
	s_mov_b32 s21, -1
	s_mov_b32 s23, exec_lo
	v_cmpx_eq_u16_e32 0x80, v3
; %bb.561:
	s_xor_b32 s21, exec_lo, -1
; %bb.562:
	s_or_b32 exec_lo, exec_lo, s23
	s_delay_alu instid0(SALU_CYCLE_1)
	s_and_b32 s21, s21, exec_lo
	s_or_saveexec_b32 s22, s22
	v_mov_b32_e32 v2, 0x7f800001
	s_xor_b32 exec_lo, exec_lo, s22
	s_cbranch_execnz .LBB14_581
.LBB14_563:
	s_or_b32 exec_lo, exec_lo, s22
	s_and_saveexec_b32 s22, s21
	s_cbranch_execz .LBB14_565
.LBB14_564:
	v_and_b32_e32 v2, 0xffff, v3
	s_delay_alu instid0(VALU_DEP_1) | instskip(SKIP_1) | instid1(VALU_DEP_2)
	v_and_b32_e32 v4, 7, v2
	v_bfe_u32 v7, v2, 3, 4
	v_clz_i32_u32_e32 v5, v4
	s_delay_alu instid0(VALU_DEP_2) | instskip(NEXT) | instid1(VALU_DEP_2)
	v_cmp_eq_u32_e32 vcc_lo, 0, v7
	v_min_u32_e32 v5, 32, v5
	s_delay_alu instid0(VALU_DEP_1) | instskip(NEXT) | instid1(VALU_DEP_1)
	v_subrev_nc_u32_e32 v6, 28, v5
	v_dual_lshlrev_b32 v2, v6, v2 :: v_dual_sub_nc_u32 v5, 29, v5
	s_delay_alu instid0(VALU_DEP_1) | instskip(NEXT) | instid1(VALU_DEP_1)
	v_dual_lshlrev_b32 v3, 24, v3 :: v_dual_bitop2_b32 v2, 7, v2 bitop3:0x40
	v_dual_cndmask_b32 v5, v7, v5 :: v_dual_cndmask_b32 v2, v4, v2
	s_delay_alu instid0(VALU_DEP_2) | instskip(NEXT) | instid1(VALU_DEP_2)
	v_and_b32_e32 v3, 0x80000000, v3
	v_lshl_add_u32 v4, v5, 23, 0x3b800000
	s_delay_alu instid0(VALU_DEP_3) | instskip(NEXT) | instid1(VALU_DEP_1)
	v_lshlrev_b32_e32 v2, 20, v2
	v_or3_b32 v2, v3, v4, v2
.LBB14_565:
	s_or_b32 exec_lo, exec_lo, s22
.LBB14_566:
	s_mov_b32 s21, -1
.LBB14_567:
	s_mov_b32 s22, 0
.LBB14_568:
	s_delay_alu instid0(SALU_CYCLE_1)
	s_and_b32 vcc_lo, exec_lo, s22
	s_cbranch_vccz .LBB14_603
; %bb.569:
	s_cmp_gt_i32 s0, 22
	s_cbranch_scc0 .LBB14_579
; %bb.570:
	s_cmp_lt_i32 s0, 24
	s_cbranch_scc1 .LBB14_582
; %bb.571:
	s_cmp_gt_i32 s0, 24
	s_cbranch_scc0 .LBB14_583
; %bb.572:
	global_load_u8 v3, v[0:1], off
	s_mov_b32 s21, 0
	s_mov_b32 s22, exec_lo
	s_wait_loadcnt 0x0
	v_cmpx_lt_i16_e32 0x7f, v3
	s_xor_b32 s22, exec_lo, s22
	s_cbranch_execz .LBB14_595
; %bb.573:
	s_mov_b32 s21, -1
	s_mov_b32 s23, exec_lo
	v_cmpx_eq_u16_e32 0x80, v3
; %bb.574:
	s_xor_b32 s21, exec_lo, -1
; %bb.575:
	s_or_b32 exec_lo, exec_lo, s23
	s_delay_alu instid0(SALU_CYCLE_1)
	s_and_b32 s21, s21, exec_lo
	s_or_saveexec_b32 s22, s22
	v_mov_b32_e32 v2, 0x7f800001
	s_xor_b32 exec_lo, exec_lo, s22
	s_cbranch_execnz .LBB14_596
.LBB14_576:
	s_or_b32 exec_lo, exec_lo, s22
	s_and_saveexec_b32 s22, s21
	s_cbranch_execz .LBB14_578
.LBB14_577:
	v_and_b32_e32 v2, 0xffff, v3
	s_delay_alu instid0(VALU_DEP_1) | instskip(SKIP_1) | instid1(VALU_DEP_2)
	v_and_b32_e32 v4, 3, v2
	v_bfe_u32 v7, v2, 2, 5
	v_clz_i32_u32_e32 v5, v4
	s_delay_alu instid0(VALU_DEP_2) | instskip(NEXT) | instid1(VALU_DEP_2)
	v_cmp_eq_u32_e32 vcc_lo, 0, v7
	v_min_u32_e32 v5, 32, v5
	s_delay_alu instid0(VALU_DEP_1) | instskip(NEXT) | instid1(VALU_DEP_1)
	v_subrev_nc_u32_e32 v6, 29, v5
	v_dual_lshlrev_b32 v2, v6, v2 :: v_dual_sub_nc_u32 v5, 30, v5
	s_delay_alu instid0(VALU_DEP_1) | instskip(NEXT) | instid1(VALU_DEP_1)
	v_dual_lshlrev_b32 v3, 24, v3 :: v_dual_bitop2_b32 v2, 3, v2 bitop3:0x40
	v_dual_cndmask_b32 v5, v7, v5 :: v_dual_cndmask_b32 v2, v4, v2
	s_delay_alu instid0(VALU_DEP_2) | instskip(NEXT) | instid1(VALU_DEP_2)
	v_and_b32_e32 v3, 0x80000000, v3
	v_lshl_add_u32 v4, v5, 23, 0x37800000
	s_delay_alu instid0(VALU_DEP_3) | instskip(NEXT) | instid1(VALU_DEP_1)
	v_lshlrev_b32_e32 v2, 21, v2
	v_or3_b32 v2, v3, v4, v2
.LBB14_578:
	s_or_b32 exec_lo, exec_lo, s22
	s_mov_b32 s21, 0
	s_branch .LBB14_584
.LBB14_579:
	s_mov_b32 s22, -1
                                        ; implicit-def: $vgpr2
	s_branch .LBB14_590
.LBB14_580:
	s_or_saveexec_b32 s22, s22
	v_mov_b32_e32 v2, 0x7f800001
	s_xor_b32 exec_lo, exec_lo, s22
	s_cbranch_execz .LBB14_563
.LBB14_581:
	v_cmp_ne_u16_e32 vcc_lo, 0, v3
	v_mov_b32_e32 v2, 0
	s_and_not1_b32 s21, s21, exec_lo
	s_and_b32 s23, vcc_lo, exec_lo
	s_delay_alu instid0(SALU_CYCLE_1)
	s_or_b32 s21, s21, s23
	s_or_b32 exec_lo, exec_lo, s22
	s_and_saveexec_b32 s22, s21
	s_cbranch_execnz .LBB14_564
	s_branch .LBB14_565
.LBB14_582:
	s_mov_b32 s21, -1
                                        ; implicit-def: $vgpr2
	s_branch .LBB14_587
.LBB14_583:
	s_mov_b32 s21, -1
                                        ; implicit-def: $vgpr2
.LBB14_584:
	s_delay_alu instid0(SALU_CYCLE_1)
	s_and_b32 vcc_lo, exec_lo, s21
	s_cbranch_vccz .LBB14_586
; %bb.585:
	s_wait_loadcnt 0x0
	global_load_u8 v2, v[0:1], off
	s_wait_loadcnt 0x0
	v_lshlrev_b32_e32 v2, 24, v2
	s_delay_alu instid0(VALU_DEP_1) | instskip(NEXT) | instid1(VALU_DEP_1)
	v_and_b32_e32 v3, 0x7f000000, v2
	v_clz_i32_u32_e32 v4, v3
	v_cmp_ne_u32_e32 vcc_lo, 0, v3
	v_add_nc_u32_e32 v6, 0x1000000, v3
	s_delay_alu instid0(VALU_DEP_3) | instskip(NEXT) | instid1(VALU_DEP_1)
	v_min_u32_e32 v4, 32, v4
	v_sub_nc_u32_e64 v4, v4, 4 clamp
	s_delay_alu instid0(VALU_DEP_1) | instskip(NEXT) | instid1(VALU_DEP_1)
	v_dual_lshlrev_b32 v5, v4, v3 :: v_dual_lshlrev_b32 v4, 23, v4
	v_lshrrev_b32_e32 v5, 4, v5
	s_delay_alu instid0(VALU_DEP_1) | instskip(NEXT) | instid1(VALU_DEP_1)
	v_dual_sub_nc_u32 v4, v5, v4 :: v_dual_ashrrev_i32 v5, 8, v6
	v_add_nc_u32_e32 v4, 0x3c000000, v4
	s_delay_alu instid0(VALU_DEP_1) | instskip(NEXT) | instid1(VALU_DEP_1)
	v_and_or_b32 v4, 0x7f800000, v5, v4
	v_cndmask_b32_e32 v3, 0, v4, vcc_lo
	s_delay_alu instid0(VALU_DEP_1)
	v_and_or_b32 v2, 0x80000000, v2, v3
.LBB14_586:
	s_mov_b32 s21, 0
.LBB14_587:
	s_delay_alu instid0(SALU_CYCLE_1)
	s_and_not1_b32 vcc_lo, exec_lo, s21
	s_cbranch_vccnz .LBB14_589
; %bb.588:
	s_wait_loadcnt 0x0
	global_load_u8 v2, v[0:1], off
	s_wait_loadcnt 0x0
	v_lshlrev_b32_e32 v3, 25, v2
	v_lshlrev_b16 v2, 8, v2
	s_delay_alu instid0(VALU_DEP_1) | instskip(SKIP_1) | instid1(VALU_DEP_2)
	v_and_or_b32 v5, 0x7f00, v2, 0.5
	v_bfe_i32 v2, v2, 0, 16
	v_dual_add_f32 v5, -0.5, v5 :: v_dual_lshrrev_b32 v4, 4, v3
	v_cmp_gt_u32_e32 vcc_lo, 0x8000000, v3
	s_delay_alu instid0(VALU_DEP_2) | instskip(NEXT) | instid1(VALU_DEP_1)
	v_or_b32_e32 v4, 0x70000000, v4
	v_mul_f32_e32 v4, 0x7800000, v4
	s_delay_alu instid0(VALU_DEP_1) | instskip(NEXT) | instid1(VALU_DEP_1)
	v_cndmask_b32_e32 v3, v4, v5, vcc_lo
	v_and_or_b32 v2, 0x80000000, v2, v3
.LBB14_589:
	s_mov_b32 s22, 0
	s_mov_b32 s21, -1
.LBB14_590:
	s_and_not1_b32 vcc_lo, exec_lo, s22
	s_cbranch_vccnz .LBB14_603
; %bb.591:
	s_cmp_gt_i32 s0, 14
	s_cbranch_scc0 .LBB14_594
; %bb.592:
	s_cmp_eq_u32 s0, 15
	s_cbranch_scc0 .LBB14_597
; %bb.593:
	s_wait_loadcnt 0x0
	global_load_u16 v2, v[0:1], off
	s_mov_b32 s21, -1
	s_mov_b32 s20, 0
	s_wait_loadcnt 0x0
	v_lshlrev_b32_e32 v2, 16, v2
	s_branch .LBB14_598
.LBB14_594:
	s_mov_b32 s22, -1
                                        ; implicit-def: $vgpr2
	s_branch .LBB14_599
.LBB14_595:
	s_or_saveexec_b32 s22, s22
	v_mov_b32_e32 v2, 0x7f800001
	s_xor_b32 exec_lo, exec_lo, s22
	s_cbranch_execz .LBB14_576
.LBB14_596:
	v_cmp_ne_u16_e32 vcc_lo, 0, v3
	v_mov_b32_e32 v2, 0
	s_and_not1_b32 s21, s21, exec_lo
	s_and_b32 s23, vcc_lo, exec_lo
	s_delay_alu instid0(SALU_CYCLE_1)
	s_or_b32 s21, s21, s23
	s_or_b32 exec_lo, exec_lo, s22
	s_and_saveexec_b32 s22, s21
	s_cbranch_execnz .LBB14_577
	s_branch .LBB14_578
.LBB14_597:
	s_mov_b32 s20, -1
                                        ; implicit-def: $vgpr2
.LBB14_598:
	s_mov_b32 s22, 0
.LBB14_599:
	s_delay_alu instid0(SALU_CYCLE_1)
	s_and_b32 vcc_lo, exec_lo, s22
	s_cbranch_vccz .LBB14_603
; %bb.600:
	s_cmp_eq_u32 s0, 11
	s_cbranch_scc0 .LBB14_602
; %bb.601:
	s_wait_loadcnt 0x0
	global_load_u8 v2, v[0:1], off
	s_mov_b32 s20, 0
	s_mov_b32 s21, -1
	s_wait_loadcnt 0x0
	v_cmp_ne_u16_e32 vcc_lo, 0, v2
	v_cndmask_b32_e64 v2, 0, 1.0, vcc_lo
	s_branch .LBB14_603
.LBB14_602:
	s_mov_b32 s20, -1
                                        ; implicit-def: $vgpr2
.LBB14_603:
	s_mov_b32 s22, 0
.LBB14_604:
	s_delay_alu instid0(SALU_CYCLE_1)
	s_and_b32 vcc_lo, exec_lo, s22
	s_cbranch_vccz .LBB14_653
; %bb.605:
	s_cmp_lt_i32 s0, 5
	s_cbranch_scc1 .LBB14_610
; %bb.606:
	s_cmp_lt_i32 s0, 8
	s_cbranch_scc1 .LBB14_611
	;; [unrolled: 3-line block ×3, first 2 shown]
; %bb.608:
	s_cmp_gt_i32 s0, 9
	s_cbranch_scc0 .LBB14_613
; %bb.609:
	s_wait_loadcnt 0x0
	global_load_b64 v[2:3], v[0:1], off
	s_mov_b32 s21, 0
	s_wait_loadcnt 0x0
	v_cvt_f32_f64_e32 v2, v[2:3]
	s_branch .LBB14_614
.LBB14_610:
	s_mov_b32 s21, -1
                                        ; implicit-def: $vgpr2
	s_branch .LBB14_632
.LBB14_611:
	s_mov_b32 s21, -1
                                        ; implicit-def: $vgpr2
	s_branch .LBB14_620
.LBB14_612:
	s_mov_b32 s21, -1
                                        ; implicit-def: $vgpr2
	s_branch .LBB14_617
.LBB14_613:
	s_mov_b32 s21, -1
                                        ; implicit-def: $vgpr2
.LBB14_614:
	s_delay_alu instid0(SALU_CYCLE_1)
	s_and_not1_b32 vcc_lo, exec_lo, s21
	s_cbranch_vccnz .LBB14_616
; %bb.615:
	s_wait_loadcnt 0x0
	global_load_b32 v2, v[0:1], off
.LBB14_616:
	s_mov_b32 s21, 0
.LBB14_617:
	s_delay_alu instid0(SALU_CYCLE_1)
	s_and_not1_b32 vcc_lo, exec_lo, s21
	s_cbranch_vccnz .LBB14_619
; %bb.618:
	s_wait_loadcnt 0x0
	global_load_b32 v2, v[0:1], off
	s_wait_loadcnt 0x0
	v_cvt_f32_f16_e32 v2, v2
.LBB14_619:
	s_mov_b32 s21, 0
.LBB14_620:
	s_delay_alu instid0(SALU_CYCLE_1)
	s_and_not1_b32 vcc_lo, exec_lo, s21
	s_cbranch_vccnz .LBB14_631
; %bb.621:
	s_cmp_lt_i32 s0, 6
	s_cbranch_scc1 .LBB14_624
; %bb.622:
	s_cmp_gt_i32 s0, 6
	s_cbranch_scc0 .LBB14_625
; %bb.623:
	s_wait_loadcnt 0x0
	global_load_b64 v[2:3], v[0:1], off
	s_mov_b32 s21, 0
	s_wait_loadcnt 0x0
	v_cvt_f32_f64_e32 v2, v[2:3]
	s_branch .LBB14_626
.LBB14_624:
	s_mov_b32 s21, -1
                                        ; implicit-def: $vgpr2
	s_branch .LBB14_629
.LBB14_625:
	s_mov_b32 s21, -1
                                        ; implicit-def: $vgpr2
.LBB14_626:
	s_delay_alu instid0(SALU_CYCLE_1)
	s_and_not1_b32 vcc_lo, exec_lo, s21
	s_cbranch_vccnz .LBB14_628
; %bb.627:
	s_wait_loadcnt 0x0
	global_load_b32 v2, v[0:1], off
.LBB14_628:
	s_mov_b32 s21, 0
.LBB14_629:
	s_delay_alu instid0(SALU_CYCLE_1)
	s_and_not1_b32 vcc_lo, exec_lo, s21
	s_cbranch_vccnz .LBB14_631
; %bb.630:
	s_wait_loadcnt 0x0
	global_load_u16 v2, v[0:1], off
	s_wait_loadcnt 0x0
	v_cvt_f32_f16_e32 v2, v2
.LBB14_631:
	s_mov_b32 s21, 0
.LBB14_632:
	s_delay_alu instid0(SALU_CYCLE_1)
	s_and_not1_b32 vcc_lo, exec_lo, s21
	s_cbranch_vccnz .LBB14_652
; %bb.633:
	s_cmp_lt_i32 s0, 2
	s_cbranch_scc1 .LBB14_637
; %bb.634:
	s_cmp_lt_i32 s0, 3
	s_cbranch_scc1 .LBB14_638
; %bb.635:
	s_cmp_gt_i32 s0, 3
	s_cbranch_scc0 .LBB14_639
; %bb.636:
	s_wait_loadcnt 0x0
	global_load_b64 v[2:3], v[0:1], off
	s_mov_b32 s21, 0
	s_wait_loadcnt 0x0
	v_xor_b32_e32 v4, v2, v3
	v_cls_i32_e32 v5, v3
	s_delay_alu instid0(VALU_DEP_2) | instskip(NEXT) | instid1(VALU_DEP_1)
	v_ashrrev_i32_e32 v4, 31, v4
	v_add_nc_u32_e32 v4, 32, v4
	s_delay_alu instid0(VALU_DEP_1) | instskip(NEXT) | instid1(VALU_DEP_1)
	v_add_min_u32_e64 v4, v5, -1, v4
	v_lshlrev_b64_e32 v[2:3], v4, v[2:3]
	s_delay_alu instid0(VALU_DEP_1) | instskip(NEXT) | instid1(VALU_DEP_1)
	v_min_u32_e32 v2, 1, v2
	v_dual_sub_nc_u32 v3, 32, v4 :: v_dual_bitop2_b32 v2, v3, v2 bitop3:0x54
	s_delay_alu instid0(VALU_DEP_1) | instskip(NEXT) | instid1(VALU_DEP_1)
	v_cvt_f32_i32_e32 v2, v2
	v_ldexp_f32 v2, v2, v3
	s_branch .LBB14_640
.LBB14_637:
	s_mov_b32 s21, -1
                                        ; implicit-def: $vgpr2
	s_branch .LBB14_646
.LBB14_638:
	s_mov_b32 s21, -1
                                        ; implicit-def: $vgpr2
	s_branch .LBB14_643
.LBB14_639:
	s_mov_b32 s21, -1
                                        ; implicit-def: $vgpr2
.LBB14_640:
	s_delay_alu instid0(SALU_CYCLE_1)
	s_and_not1_b32 vcc_lo, exec_lo, s21
	s_cbranch_vccnz .LBB14_642
; %bb.641:
	s_wait_loadcnt 0x0
	global_load_b32 v2, v[0:1], off
	s_wait_loadcnt 0x0
	v_cvt_f32_i32_e32 v2, v2
.LBB14_642:
	s_mov_b32 s21, 0
.LBB14_643:
	s_delay_alu instid0(SALU_CYCLE_1)
	s_and_not1_b32 vcc_lo, exec_lo, s21
	s_cbranch_vccnz .LBB14_645
; %bb.644:
	s_wait_loadcnt 0x0
	global_load_i16 v2, v[0:1], off
	s_wait_loadcnt 0x0
	v_cvt_f32_i32_e32 v2, v2
.LBB14_645:
	s_mov_b32 s21, 0
.LBB14_646:
	s_delay_alu instid0(SALU_CYCLE_1)
	s_and_not1_b32 vcc_lo, exec_lo, s21
	s_cbranch_vccnz .LBB14_652
; %bb.647:
	s_cmp_gt_i32 s0, 0
	s_mov_b32 s0, 0
	s_cbranch_scc0 .LBB14_649
; %bb.648:
	s_wait_loadcnt 0x0
	global_load_i8 v2, v[0:1], off
	s_wait_loadcnt 0x0
	v_cvt_f32_i32_e32 v2, v2
	s_branch .LBB14_650
.LBB14_649:
	s_mov_b32 s0, -1
                                        ; implicit-def: $vgpr2
.LBB14_650:
	s_delay_alu instid0(SALU_CYCLE_1)
	s_and_not1_b32 vcc_lo, exec_lo, s0
	s_cbranch_vccnz .LBB14_652
; %bb.651:
	global_load_u8 v0, v[0:1], off
	s_wait_loadcnt 0x0
	v_cvt_f32_ubyte0_e32 v2, v0
.LBB14_652:
	s_mov_b32 s21, -1
.LBB14_653:
	s_delay_alu instid0(SALU_CYCLE_1)
	s_and_not1_b32 vcc_lo, exec_lo, s21
	s_cbranch_vccnz .LBB14_663
; %bb.654:
	s_wait_xcnt 0x0
	v_mov_b32_e32 v0, 1.0
	s_mov_b32 s0, exec_lo
	s_wait_loadcnt 0x0
	s_delay_alu instid0(VALU_DEP_2)
	v_cmpx_lt_f32_e32 s10, v2
	s_cbranch_execz .LBB14_656
; %bb.655:
	v_add_f32_e32 v0, 0x33d6bf95, v2
	s_delay_alu instid0(VALU_DEP_1) | instskip(NEXT) | instid1(VALU_DEP_1)
	v_div_scale_f32 v1, null, v0, v0, s10
	v_rcp_f32_e32 v2, v1
	v_nop
	s_delay_alu instid0(TRANS32_DEP_1) | instskip(NEXT) | instid1(VALU_DEP_1)
	v_fma_f32 v3, -v1, v2, 1.0
	v_fmac_f32_e32 v2, v3, v2
	v_div_scale_f32 v3, vcc_lo, s10, v0, s10
	s_delay_alu instid0(VALU_DEP_1) | instskip(NEXT) | instid1(VALU_DEP_1)
	v_mul_f32_e32 v4, v3, v2
	v_fma_f32 v5, -v1, v4, v3
	s_delay_alu instid0(VALU_DEP_1) | instskip(NEXT) | instid1(VALU_DEP_1)
	v_fmac_f32_e32 v4, v5, v2
	v_fma_f32 v1, -v1, v4, v3
	s_delay_alu instid0(VALU_DEP_1) | instskip(NEXT) | instid1(VALU_DEP_1)
	v_div_fmas_f32 v1, v1, v2, v4
	v_div_fixup_f32 v0, v1, v0, s10
.LBB14_656:
	s_or_b32 exec_lo, exec_lo, s0
	v_mul_lo_u32 v2, v8, s8
	s_and_b32 s21, s11, 0xff
	s_delay_alu instid0(SALU_CYCLE_1) | instskip(NEXT) | instid1(VALU_DEP_1)
	s_cmp_lt_i32 s21, 11
	v_ashrrev_i32_e32 v3, 31, v2
	s_delay_alu instid0(VALU_DEP_1)
	v_add_nc_u64_e32 v[2:3], s[4:5], v[2:3]
	s_cbranch_scc1 .LBB14_664
; %bb.657:
	s_and_b32 s22, 0xffff, s21
	s_delay_alu instid0(SALU_CYCLE_1)
	s_cmp_gt_i32 s22, 25
	s_cbranch_scc0 .LBB14_665
; %bb.658:
	s_cmp_gt_i32 s22, 28
	s_cbranch_scc0 .LBB14_666
; %bb.659:
	;; [unrolled: 3-line block ×4, first 2 shown]
	s_mov_b32 s24, 0
	s_mov_b32 s0, -1
	s_cmp_eq_u32 s22, 46
	s_mov_b32 s23, 0
	s_cbranch_scc0 .LBB14_669
; %bb.662:
	v_bfe_u32 v1, v0, 16, 1
	v_cmp_o_f32_e32 vcc_lo, v0, v0
	s_mov_b32 s23, -1
	s_mov_b32 s0, 0
	s_delay_alu instid0(VALU_DEP_2) | instskip(NEXT) | instid1(VALU_DEP_1)
	v_add3_u32 v1, v0, v1, 0x7fff
	v_lshrrev_b32_e32 v1, 16, v1
	s_delay_alu instid0(VALU_DEP_1)
	v_cndmask_b32_e32 v1, 0x7fc0, v1, vcc_lo
	global_store_b32 v[2:3], v1, off
	s_branch .LBB14_669
.LBB14_663:
	s_mov_b32 s21, 0
	s_mov_b32 s0, s17
	s_branch .LBB14_780
.LBB14_664:
	s_mov_b32 s22, -1
	s_mov_b32 s23, 0
	s_mov_b32 s0, s17
	s_branch .LBB14_738
.LBB14_665:
	s_mov_b32 s24, -1
	s_mov_b32 s23, 0
	s_mov_b32 s0, s17
	s_branch .LBB14_696
.LBB14_666:
	s_mov_b32 s24, -1
	s_mov_b32 s23, 0
	s_mov_b32 s0, s17
	s_branch .LBB14_679
.LBB14_667:
	s_mov_b32 s24, -1
	s_mov_b32 s23, 0
	s_mov_b32 s0, s17
	s_branch .LBB14_675
.LBB14_668:
	s_mov_b32 s24, -1
	s_mov_b32 s23, 0
	s_mov_b32 s0, s17
.LBB14_669:
	s_and_b32 vcc_lo, exec_lo, s24
	s_cbranch_vccz .LBB14_674
; %bb.670:
	s_cmp_eq_u32 s22, 44
	s_mov_b32 s0, -1
	s_cbranch_scc0 .LBB14_674
; %bb.671:
	v_bfe_u32 v4, v0, 23, 8
	s_wait_xcnt 0x0
	v_mov_b32_e32 v1, 0xff
	s_mov_b32 s23, exec_lo
	s_delay_alu instid0(VALU_DEP_2)
	v_cmpx_ne_u32_e32 0xff, v4
	s_cbranch_execz .LBB14_673
; %bb.672:
	v_and_b32_e32 v1, 0x400000, v0
	v_and_or_b32 v4, 0x3fffff, v0, v4
	s_delay_alu instid0(VALU_DEP_2) | instskip(NEXT) | instid1(VALU_DEP_2)
	v_cmp_ne_u32_e32 vcc_lo, 0, v1
	v_cmp_ne_u32_e64 s0, 0, v4
	v_lshrrev_b32_e32 v1, 23, v0
	s_and_b32 s0, vcc_lo, s0
	s_delay_alu instid0(SALU_CYCLE_1) | instskip(NEXT) | instid1(VALU_DEP_1)
	v_cndmask_b32_e64 v4, 0, 1, s0
	v_add_nc_u32_e32 v1, v1, v4
.LBB14_673:
	s_or_b32 exec_lo, exec_lo, s23
	s_mov_b32 s23, -1
	s_mov_b32 s0, 0
	global_store_b8 v[2:3], v1, off
.LBB14_674:
	s_mov_b32 s24, 0
.LBB14_675:
	s_delay_alu instid0(SALU_CYCLE_1)
	s_and_b32 vcc_lo, exec_lo, s24
	s_cbranch_vccz .LBB14_678
; %bb.676:
	s_cmp_eq_u32 s22, 29
	s_mov_b32 s0, -1
	s_cbranch_scc0 .LBB14_678
; %bb.677:
	s_wait_xcnt 0x0
	v_trunc_f32_e32 v1, v0
	s_mov_b32 s23, -1
	s_mov_b32 s0, 0
	s_mov_b32 s24, 0
	s_delay_alu instid0(VALU_DEP_1) | instskip(NEXT) | instid1(VALU_DEP_1)
	v_mul_f32_e32 v4, 0x2f800000, v1
	v_floor_f32_e32 v4, v4
	s_delay_alu instid0(VALU_DEP_1) | instskip(SKIP_1) | instid1(VALU_DEP_2)
	v_fmamk_f32 v1, v4, 0xcf800000, v1
	v_cvt_u32_f32_e32 v5, v4
	v_cvt_u32_f32_e32 v4, v1
	global_store_b64 v[2:3], v[4:5], off
	s_branch .LBB14_679
.LBB14_678:
	s_mov_b32 s24, 0
.LBB14_679:
	s_delay_alu instid0(SALU_CYCLE_1)
	s_and_b32 vcc_lo, exec_lo, s24
	s_cbranch_vccz .LBB14_695
; %bb.680:
	s_cmp_lt_i32 s22, 27
	s_mov_b32 s23, -1
	s_cbranch_scc1 .LBB14_686
; %bb.681:
	s_wait_xcnt 0x0
	v_cvt_u32_f32_e32 v1, v0
	s_cmp_gt_i32 s22, 27
	s_cbranch_scc0 .LBB14_683
; %bb.682:
	s_mov_b32 s23, 0
	global_store_b32 v[2:3], v1, off
.LBB14_683:
	s_and_not1_b32 vcc_lo, exec_lo, s23
	s_cbranch_vccnz .LBB14_685
; %bb.684:
	global_store_b16 v[2:3], v1, off
.LBB14_685:
	s_mov_b32 s23, 0
.LBB14_686:
	s_delay_alu instid0(SALU_CYCLE_1)
	s_and_not1_b32 vcc_lo, exec_lo, s23
	s_cbranch_vccnz .LBB14_694
; %bb.687:
	s_wait_xcnt 0x0
	v_and_b32_e32 v1, 0x7fffffff, v0
	v_mov_b32_e32 v4, 0x80
	s_mov_b32 s23, exec_lo
	s_delay_alu instid0(VALU_DEP_2)
	v_cmpx_gt_u32_e32 0x43800000, v1
	s_cbranch_execz .LBB14_693
; %bb.688:
	v_cmp_lt_u32_e32 vcc_lo, 0x3bffffff, v1
	s_mov_b32 s24, 0
                                        ; implicit-def: $vgpr1
	s_and_saveexec_b32 s25, vcc_lo
	s_delay_alu instid0(SALU_CYCLE_1)
	s_xor_b32 s25, exec_lo, s25
	s_cbranch_execz .LBB14_795
; %bb.689:
	v_bfe_u32 v1, v0, 20, 1
	s_mov_b32 s24, exec_lo
	s_delay_alu instid0(VALU_DEP_1) | instskip(NEXT) | instid1(VALU_DEP_1)
	v_add3_u32 v1, v0, v1, 0x487ffff
	v_lshrrev_b32_e32 v1, 20, v1
	s_and_not1_saveexec_b32 s25, s25
	s_cbranch_execnz .LBB14_796
.LBB14_690:
	s_or_b32 exec_lo, exec_lo, s25
	v_mov_b32_e32 v4, 0
	s_and_saveexec_b32 s25, s24
.LBB14_691:
	v_lshrrev_b32_e32 v4, 24, v0
	s_delay_alu instid0(VALU_DEP_1)
	v_and_or_b32 v4, 0x80, v4, v1
.LBB14_692:
	s_or_b32 exec_lo, exec_lo, s25
.LBB14_693:
	s_delay_alu instid0(SALU_CYCLE_1)
	s_or_b32 exec_lo, exec_lo, s23
	global_store_b8 v[2:3], v4, off
.LBB14_694:
	s_mov_b32 s23, -1
.LBB14_695:
	s_mov_b32 s24, 0
.LBB14_696:
	s_delay_alu instid0(SALU_CYCLE_1)
	s_and_b32 vcc_lo, exec_lo, s24
	s_cbranch_vccz .LBB14_737
; %bb.697:
	s_cmp_gt_i32 s22, 22
	s_mov_b32 s24, -1
	s_cbranch_scc0 .LBB14_729
; %bb.698:
	s_cmp_lt_i32 s22, 24
	s_mov_b32 s23, -1
	s_cbranch_scc1 .LBB14_718
; %bb.699:
	s_cmp_gt_i32 s22, 24
	s_cbranch_scc0 .LBB14_707
; %bb.700:
	s_wait_xcnt 0x0
	v_and_b32_e32 v1, 0x7fffffff, v0
	v_mov_b32_e32 v4, 0x80
	s_mov_b32 s23, exec_lo
	s_delay_alu instid0(VALU_DEP_2)
	v_cmpx_gt_u32_e32 0x47800000, v1
	s_cbranch_execz .LBB14_706
; %bb.701:
	v_cmp_lt_u32_e32 vcc_lo, 0x37ffffff, v1
	s_mov_b32 s24, 0
                                        ; implicit-def: $vgpr1
	s_and_saveexec_b32 s25, vcc_lo
	s_delay_alu instid0(SALU_CYCLE_1)
	s_xor_b32 s25, exec_lo, s25
	s_cbranch_execz .LBB14_798
; %bb.702:
	v_bfe_u32 v1, v0, 21, 1
	s_mov_b32 s24, exec_lo
	s_delay_alu instid0(VALU_DEP_1) | instskip(NEXT) | instid1(VALU_DEP_1)
	v_add3_u32 v1, v0, v1, 0x88fffff
	v_lshrrev_b32_e32 v1, 21, v1
	s_and_not1_saveexec_b32 s25, s25
	s_cbranch_execnz .LBB14_799
.LBB14_703:
	s_or_b32 exec_lo, exec_lo, s25
	v_mov_b32_e32 v4, 0
	s_and_saveexec_b32 s25, s24
.LBB14_704:
	v_lshrrev_b32_e32 v4, 24, v0
	s_delay_alu instid0(VALU_DEP_1)
	v_and_or_b32 v4, 0x80, v4, v1
.LBB14_705:
	s_or_b32 exec_lo, exec_lo, s25
.LBB14_706:
	s_delay_alu instid0(SALU_CYCLE_1)
	s_or_b32 exec_lo, exec_lo, s23
	s_mov_b32 s23, 0
	global_store_b8 v[2:3], v4, off
.LBB14_707:
	s_and_b32 vcc_lo, exec_lo, s23
	s_cbranch_vccz .LBB14_717
; %bb.708:
	s_wait_xcnt 0x0
	v_and_b32_e32 v4, 0x7fffffff, v0
	s_mov_b32 s23, exec_lo
                                        ; implicit-def: $vgpr1
	s_delay_alu instid0(VALU_DEP_1)
	v_cmpx_gt_u32_e32 0x43f00000, v4
	s_xor_b32 s23, exec_lo, s23
	s_cbranch_execz .LBB14_714
; %bb.709:
	s_mov_b32 s24, exec_lo
                                        ; implicit-def: $vgpr1
	v_cmpx_lt_u32_e32 0x3c7fffff, v4
	s_xor_b32 s24, exec_lo, s24
; %bb.710:
	v_bfe_u32 v1, v0, 20, 1
	s_delay_alu instid0(VALU_DEP_1) | instskip(NEXT) | instid1(VALU_DEP_1)
	v_add3_u32 v1, v0, v1, 0x407ffff
	v_and_b32_e32 v4, 0xff00000, v1
	v_lshrrev_b32_e32 v1, 20, v1
	s_delay_alu instid0(VALU_DEP_2) | instskip(NEXT) | instid1(VALU_DEP_2)
	v_cmp_ne_u32_e32 vcc_lo, 0x7f00000, v4
	v_cndmask_b32_e32 v1, 0x7e, v1, vcc_lo
; %bb.711:
	s_and_not1_saveexec_b32 s24, s24
; %bb.712:
	v_add_f32_e64 v1, 0x46800000, |v0|
; %bb.713:
	s_or_b32 exec_lo, exec_lo, s24
                                        ; implicit-def: $vgpr4
.LBB14_714:
	s_and_not1_saveexec_b32 s23, s23
; %bb.715:
	v_mov_b32_e32 v1, 0x7f
	v_cmp_lt_u32_e32 vcc_lo, 0x7f800000, v4
	s_delay_alu instid0(VALU_DEP_2)
	v_cndmask_b32_e32 v1, 0x7e, v1, vcc_lo
; %bb.716:
	s_or_b32 exec_lo, exec_lo, s23
	v_lshrrev_b32_e32 v4, 24, v0
	s_delay_alu instid0(VALU_DEP_1)
	v_and_or_b32 v1, 0x80, v4, v1
	global_store_b8 v[2:3], v1, off
.LBB14_717:
	s_mov_b32 s23, 0
.LBB14_718:
	s_delay_alu instid0(SALU_CYCLE_1)
	s_and_not1_b32 vcc_lo, exec_lo, s23
	s_cbranch_vccnz .LBB14_728
; %bb.719:
	s_wait_xcnt 0x0
	v_and_b32_e32 v4, 0x7fffffff, v0
	s_mov_b32 s23, exec_lo
                                        ; implicit-def: $vgpr1
	s_delay_alu instid0(VALU_DEP_1)
	v_cmpx_gt_u32_e32 0x47800000, v4
	s_xor_b32 s23, exec_lo, s23
	s_cbranch_execz .LBB14_725
; %bb.720:
	s_mov_b32 s24, exec_lo
                                        ; implicit-def: $vgpr1
	v_cmpx_lt_u32_e32 0x387fffff, v4
	s_xor_b32 s24, exec_lo, s24
; %bb.721:
	v_bfe_u32 v1, v0, 21, 1
	s_delay_alu instid0(VALU_DEP_1) | instskip(NEXT) | instid1(VALU_DEP_1)
	v_add3_u32 v1, v0, v1, 0x80fffff
	v_lshrrev_b32_e32 v1, 21, v1
; %bb.722:
	s_and_not1_saveexec_b32 s24, s24
; %bb.723:
	v_add_f32_e64 v1, 0x43000000, |v0|
; %bb.724:
	s_or_b32 exec_lo, exec_lo, s24
                                        ; implicit-def: $vgpr4
.LBB14_725:
	s_and_not1_saveexec_b32 s23, s23
; %bb.726:
	v_mov_b32_e32 v1, 0x7f
	v_cmp_lt_u32_e32 vcc_lo, 0x7f800000, v4
	s_delay_alu instid0(VALU_DEP_2)
	v_cndmask_b32_e32 v1, 0x7c, v1, vcc_lo
; %bb.727:
	s_or_b32 exec_lo, exec_lo, s23
	v_lshrrev_b32_e32 v4, 24, v0
	s_delay_alu instid0(VALU_DEP_1)
	v_and_or_b32 v1, 0x80, v4, v1
	global_store_b8 v[2:3], v1, off
.LBB14_728:
	s_mov_b32 s24, 0
	s_mov_b32 s23, -1
.LBB14_729:
	s_and_not1_b32 vcc_lo, exec_lo, s24
	s_cbranch_vccnz .LBB14_737
; %bb.730:
	s_cmp_gt_i32 s22, 14
	s_mov_b32 s24, -1
	s_cbranch_scc0 .LBB14_734
; %bb.731:
	s_cmp_eq_u32 s22, 15
	s_mov_b32 s0, -1
	s_cbranch_scc0 .LBB14_733
; %bb.732:
	s_wait_xcnt 0x0
	v_bfe_u32 v1, v0, 16, 1
	v_cmp_o_f32_e32 vcc_lo, v0, v0
	s_mov_b32 s23, -1
	s_mov_b32 s0, 0
	s_delay_alu instid0(VALU_DEP_2) | instskip(NEXT) | instid1(VALU_DEP_1)
	v_add3_u32 v1, v0, v1, 0x7fff
	v_lshrrev_b32_e32 v1, 16, v1
	s_delay_alu instid0(VALU_DEP_1)
	v_cndmask_b32_e32 v1, 0x7fc0, v1, vcc_lo
	global_store_b16 v[2:3], v1, off
.LBB14_733:
	s_mov_b32 s24, 0
.LBB14_734:
	s_delay_alu instid0(SALU_CYCLE_1)
	s_and_b32 vcc_lo, exec_lo, s24
	s_cbranch_vccz .LBB14_737
; %bb.735:
	s_cmp_eq_u32 s22, 11
	s_mov_b32 s0, -1
	s_cbranch_scc0 .LBB14_737
; %bb.736:
	v_cmp_neq_f32_e32 vcc_lo, 0, v0
	s_mov_b32 s0, 0
	s_mov_b32 s23, -1
	s_wait_xcnt 0x0
	v_cndmask_b32_e64 v1, 0, 1, vcc_lo
	global_store_b8 v[2:3], v1, off
.LBB14_737:
	s_mov_b32 s22, 0
.LBB14_738:
	s_delay_alu instid0(SALU_CYCLE_1)
	s_and_b32 vcc_lo, exec_lo, s22
	s_cbranch_vccz .LBB14_777
; %bb.739:
	s_and_b32 s21, 0xffff, s21
	s_mov_b32 s22, -1
	s_cmp_lt_i32 s21, 5
	s_cbranch_scc1 .LBB14_760
; %bb.740:
	s_cmp_lt_i32 s21, 8
	s_cbranch_scc1 .LBB14_750
; %bb.741:
	s_cmp_lt_i32 s21, 9
	s_cbranch_scc1 .LBB14_747
; %bb.742:
	s_cmp_gt_i32 s21, 9
	s_cbranch_scc0 .LBB14_744
; %bb.743:
	s_wait_xcnt 0x0
	v_cvt_f64_f32_e32 v[4:5], v0
	v_mov_b32_e32 v6, 0
	s_mov_b32 s22, 0
	s_delay_alu instid0(VALU_DEP_1)
	v_mov_b32_e32 v7, v6
	global_store_b128 v[2:3], v[4:7], off
.LBB14_744:
	s_and_not1_b32 vcc_lo, exec_lo, s22
	s_cbranch_vccnz .LBB14_746
; %bb.745:
	s_wait_xcnt 0x0
	v_mov_b32_e32 v1, 0
	global_store_b64 v[2:3], v[0:1], off
.LBB14_746:
	s_mov_b32 s22, 0
.LBB14_747:
	s_delay_alu instid0(SALU_CYCLE_1)
	s_and_not1_b32 vcc_lo, exec_lo, s22
	s_cbranch_vccnz .LBB14_749
; %bb.748:
	s_wait_xcnt 0x0
	v_cvt_f16_f32_e32 v1, v0
	s_delay_alu instid0(VALU_DEP_1)
	v_and_b32_e32 v1, 0xffff, v1
	global_store_b32 v[2:3], v1, off
.LBB14_749:
	s_mov_b32 s22, 0
.LBB14_750:
	s_delay_alu instid0(SALU_CYCLE_1)
	s_and_not1_b32 vcc_lo, exec_lo, s22
	s_cbranch_vccnz .LBB14_759
; %bb.751:
	s_cmp_lt_i32 s21, 6
	s_mov_b32 s22, -1
	s_cbranch_scc1 .LBB14_757
; %bb.752:
	s_cmp_gt_i32 s21, 6
	s_cbranch_scc0 .LBB14_754
; %bb.753:
	s_wait_xcnt 0x0
	v_cvt_f64_f32_e32 v[4:5], v0
	s_mov_b32 s22, 0
	global_store_b64 v[2:3], v[4:5], off
.LBB14_754:
	s_and_not1_b32 vcc_lo, exec_lo, s22
	s_cbranch_vccnz .LBB14_756
; %bb.755:
	global_store_b32 v[2:3], v0, off
.LBB14_756:
	s_mov_b32 s22, 0
.LBB14_757:
	s_delay_alu instid0(SALU_CYCLE_1)
	s_and_not1_b32 vcc_lo, exec_lo, s22
	s_cbranch_vccnz .LBB14_759
; %bb.758:
	s_wait_xcnt 0x0
	v_cvt_f16_f32_e32 v1, v0
	global_store_b16 v[2:3], v1, off
.LBB14_759:
	s_mov_b32 s22, 0
.LBB14_760:
	s_delay_alu instid0(SALU_CYCLE_1)
	s_and_not1_b32 vcc_lo, exec_lo, s22
	s_cbranch_vccnz .LBB14_776
; %bb.761:
	s_cmp_lt_i32 s21, 2
	s_mov_b32 s22, -1
	s_cbranch_scc1 .LBB14_771
; %bb.762:
	s_cmp_lt_i32 s21, 3
	s_cbranch_scc1 .LBB14_768
; %bb.763:
	s_cmp_gt_i32 s21, 3
	s_cbranch_scc0 .LBB14_765
; %bb.764:
	s_wait_xcnt 0x0
	v_trunc_f32_e32 v1, v0
	s_mov_b32 s22, 0
	s_delay_alu instid0(VALU_DEP_1) | instskip(NEXT) | instid1(VALU_DEP_1)
	v_mul_f32_e64 v4, 0x2f800000, |v1|
	v_floor_f32_e32 v5, v4
	v_ashrrev_i32_e32 v4, 31, v1
	s_delay_alu instid0(VALU_DEP_2) | instskip(SKIP_1) | instid1(VALU_DEP_3)
	v_fma_f32 v6, 0xcf800000, v5, |v1|
	v_cvt_u32_f32_e32 v1, v5
	v_mov_b32_e32 v5, v4
	s_delay_alu instid0(VALU_DEP_3) | instskip(NEXT) | instid1(VALU_DEP_3)
	v_cvt_u32_f32_e32 v6, v6
	v_xor_b32_e32 v7, v1, v4
	s_delay_alu instid0(VALU_DEP_2) | instskip(NEXT) | instid1(VALU_DEP_1)
	v_xor_b32_e32 v6, v6, v4
	v_sub_nc_u64_e32 v[4:5], v[6:7], v[4:5]
	global_store_b64 v[2:3], v[4:5], off
.LBB14_765:
	s_and_not1_b32 vcc_lo, exec_lo, s22
	s_cbranch_vccnz .LBB14_767
; %bb.766:
	s_wait_xcnt 0x0
	v_cvt_i32_f32_e32 v1, v0
	global_store_b32 v[2:3], v1, off
.LBB14_767:
	s_mov_b32 s22, 0
.LBB14_768:
	s_delay_alu instid0(SALU_CYCLE_1)
	s_and_not1_b32 vcc_lo, exec_lo, s22
	s_cbranch_vccnz .LBB14_770
; %bb.769:
	s_wait_xcnt 0x0
	v_cvt_i32_f32_e32 v1, v0
	global_store_b16 v[2:3], v1, off
.LBB14_770:
	s_mov_b32 s22, 0
.LBB14_771:
	s_delay_alu instid0(SALU_CYCLE_1)
	s_and_not1_b32 vcc_lo, exec_lo, s22
	s_cbranch_vccnz .LBB14_776
; %bb.772:
	s_cmp_gt_i32 s21, 0
	s_mov_b32 s21, -1
	s_cbranch_scc0 .LBB14_774
; %bb.773:
	s_wait_xcnt 0x0
	v_cvt_i32_f32_e32 v1, v0
	s_mov_b32 s21, 0
	global_store_b8 v[2:3], v1, off
.LBB14_774:
	s_and_not1_b32 vcc_lo, exec_lo, s21
	s_cbranch_vccnz .LBB14_776
; %bb.775:
	s_wait_xcnt 0x0
	v_trunc_f32_e32 v0, v0
	s_delay_alu instid0(VALU_DEP_1) | instskip(NEXT) | instid1(VALU_DEP_1)
	v_mul_f32_e64 v1, 0x2f800000, |v0|
	v_floor_f32_e32 v1, v1
	s_delay_alu instid0(VALU_DEP_1) | instskip(SKIP_1) | instid1(VALU_DEP_2)
	v_fma_f32 v1, 0xcf800000, v1, |v0|
	v_ashrrev_i32_e32 v0, 31, v0
	v_cvt_u32_f32_e32 v1, v1
	s_delay_alu instid0(VALU_DEP_1) | instskip(NEXT) | instid1(VALU_DEP_1)
	v_xor_b32_e32 v1, v1, v0
	v_sub_nc_u32_e32 v0, v1, v0
	global_store_b8 v[2:3], v0, off
.LBB14_776:
	s_mov_b32 s23, -1
.LBB14_777:
	s_delay_alu instid0(SALU_CYCLE_1)
	s_and_not1_b32 vcc_lo, exec_lo, s23
	s_cbranch_vccnz .LBB14_779
; %bb.778:
	v_add_nc_u32_e32 v8, 0x80, v8
	s_mov_b32 s21, -1
	s_branch .LBB14_781
.LBB14_779:
	s_mov_b32 s21, 0
.LBB14_780:
                                        ; implicit-def: $vgpr8
.LBB14_781:
	s_and_not1_b32 s22, s17, exec_lo
	s_and_b32 s0, s0, exec_lo
	s_and_not1_b32 s23, s16, exec_lo
	s_and_b32 s24, s20, exec_lo
	s_or_b32 s20, s22, s0
	s_or_b32 s0, s23, s24
	s_or_not1_b32 s21, s21, exec_lo
.LBB14_782:
	s_wait_xcnt 0x0
	s_or_b32 exec_lo, exec_lo, s19
	s_mov_b32 s22, 0
	s_mov_b32 s23, 0
	;; [unrolled: 1-line block ×3, first 2 shown]
                                        ; implicit-def: $vgpr0_vgpr1
                                        ; implicit-def: $vgpr4
	s_and_saveexec_b32 s19, s21
	s_cbranch_execz .LBB14_867
; %bb.783:
	v_cmp_gt_i32_e32 vcc_lo, s13, v8
	s_mov_b32 s21, 0
	s_mov_b32 s22, s0
	;; [unrolled: 1-line block ×3, first 2 shown]
                                        ; implicit-def: $vgpr0_vgpr1
                                        ; implicit-def: $vgpr4
	s_and_saveexec_b32 s13, vcc_lo
	s_cbranch_execz .LBB14_866
; %bb.784:
	v_mul_lo_u32 v0, v8, s9
	s_and_b32 s21, 0xffff, s2
	s_delay_alu instid0(SALU_CYCLE_1) | instskip(NEXT) | instid1(VALU_DEP_1)
	s_cmp_lt_i32 s21, 11
	v_ashrrev_i32_e32 v1, 31, v0
	s_delay_alu instid0(VALU_DEP_1)
	v_add_nc_u64_e32 v[0:1], s[6:7], v[0:1]
	s_cbranch_scc1 .LBB14_791
; %bb.785:
	s_cmp_gt_i32 s21, 25
	s_cbranch_scc0 .LBB14_792
; %bb.786:
	s_cmp_gt_i32 s21, 28
	s_cbranch_scc0 .LBB14_793
	;; [unrolled: 3-line block ×4, first 2 shown]
; %bb.789:
	s_cmp_eq_u32 s21, 46
	s_cbranch_scc0 .LBB14_800
; %bb.790:
	s_wait_loadcnt 0x0
	global_load_b32 v2, v[0:1], off
	s_mov_b32 s22, 0
	s_mov_b32 s24, -1
	s_wait_loadcnt 0x0
	v_lshlrev_b32_e32 v4, 16, v2
	s_branch .LBB14_802
.LBB14_791:
	s_mov_b32 s21, -1
	s_mov_b32 s22, s0
                                        ; implicit-def: $vgpr4
	s_branch .LBB14_865
.LBB14_792:
	s_mov_b32 s25, -1
	s_mov_b32 s22, s0
                                        ; implicit-def: $vgpr4
	s_branch .LBB14_831
.LBB14_793:
	s_mov_b32 s25, -1
	s_mov_b32 s22, s0
                                        ; implicit-def: $vgpr4
	s_branch .LBB14_812
.LBB14_794:
	s_mov_b32 s25, -1
	s_mov_b32 s22, s0
                                        ; implicit-def: $vgpr4
	s_branch .LBB14_807
.LBB14_795:
	s_and_not1_saveexec_b32 s25, s25
	s_cbranch_execz .LBB14_690
.LBB14_796:
	v_add_f32_e64 v1, 0x46000000, |v0|
	s_and_not1_b32 s24, s24, exec_lo
	s_delay_alu instid0(VALU_DEP_1) | instskip(NEXT) | instid1(VALU_DEP_1)
	v_and_b32_e32 v1, 0xff, v1
	v_cmp_ne_u32_e32 vcc_lo, 0, v1
	s_and_b32 s26, vcc_lo, exec_lo
	s_delay_alu instid0(SALU_CYCLE_1)
	s_or_b32 s24, s24, s26
	s_or_b32 exec_lo, exec_lo, s25
	v_mov_b32_e32 v4, 0
	s_and_saveexec_b32 s25, s24
	s_cbranch_execnz .LBB14_691
	s_branch .LBB14_692
.LBB14_797:
	s_mov_b32 s25, -1
	s_mov_b32 s22, s0
	s_branch .LBB14_801
.LBB14_798:
	s_and_not1_saveexec_b32 s25, s25
	s_cbranch_execz .LBB14_703
.LBB14_799:
	v_add_f32_e64 v1, 0x42800000, |v0|
	s_and_not1_b32 s24, s24, exec_lo
	s_delay_alu instid0(VALU_DEP_1) | instskip(NEXT) | instid1(VALU_DEP_1)
	v_and_b32_e32 v1, 0xff, v1
	v_cmp_ne_u32_e32 vcc_lo, 0, v1
	s_and_b32 s26, vcc_lo, exec_lo
	s_delay_alu instid0(SALU_CYCLE_1)
	s_or_b32 s24, s24, s26
	s_or_b32 exec_lo, exec_lo, s25
	v_mov_b32_e32 v4, 0
	s_and_saveexec_b32 s25, s24
	s_cbranch_execnz .LBB14_704
	s_branch .LBB14_705
.LBB14_800:
	s_mov_b32 s22, -1
.LBB14_801:
                                        ; implicit-def: $vgpr4
.LBB14_802:
	s_and_b32 vcc_lo, exec_lo, s25
	s_cbranch_vccz .LBB14_806
; %bb.803:
	s_cmp_eq_u32 s21, 44
	s_cbranch_scc0 .LBB14_805
; %bb.804:
	s_wait_loadcnt 0x0
	global_load_u8 v2, v[0:1], off
	s_mov_b32 s22, 0
	s_mov_b32 s24, -1
	s_wait_loadcnt 0x0
	v_lshlrev_b32_e32 v3, 23, v2
	v_cmp_ne_u32_e32 vcc_lo, 0xff, v2
	s_delay_alu instid0(VALU_DEP_2) | instskip(SKIP_1) | instid1(VALU_DEP_2)
	v_cndmask_b32_e32 v3, 0x7f800001, v3, vcc_lo
	v_cmp_ne_u32_e32 vcc_lo, 0, v2
	v_cndmask_b32_e32 v4, 0x400000, v3, vcc_lo
	s_branch .LBB14_806
.LBB14_805:
	s_mov_b32 s22, -1
                                        ; implicit-def: $vgpr4
.LBB14_806:
	s_mov_b32 s25, 0
.LBB14_807:
	s_delay_alu instid0(SALU_CYCLE_1)
	s_and_b32 vcc_lo, exec_lo, s25
	s_cbranch_vccz .LBB14_811
; %bb.808:
	s_cmp_eq_u32 s21, 29
	s_cbranch_scc0 .LBB14_810
; %bb.809:
	s_wait_loadcnt 0x0
	global_load_b64 v[2:3], v[0:1], off
	s_mov_b32 s22, 0
	s_mov_b32 s24, -1
	s_mov_b32 s25, 0
	s_wait_loadcnt 0x0
	v_clz_i32_u32_e32 v4, v3
	s_delay_alu instid0(VALU_DEP_1) | instskip(NEXT) | instid1(VALU_DEP_1)
	v_min_u32_e32 v4, 32, v4
	v_lshlrev_b64_e32 v[2:3], v4, v[2:3]
	s_delay_alu instid0(VALU_DEP_1) | instskip(NEXT) | instid1(VALU_DEP_1)
	v_min_u32_e32 v2, 1, v2
	v_dual_sub_nc_u32 v3, 32, v4 :: v_dual_bitop2_b32 v2, v3, v2 bitop3:0x54
	s_delay_alu instid0(VALU_DEP_1) | instskip(NEXT) | instid1(VALU_DEP_1)
	v_cvt_f32_u32_e32 v2, v2
	v_ldexp_f32 v4, v2, v3
	s_branch .LBB14_812
.LBB14_810:
	s_mov_b32 s22, -1
                                        ; implicit-def: $vgpr4
.LBB14_811:
	s_mov_b32 s25, 0
.LBB14_812:
	s_delay_alu instid0(SALU_CYCLE_1)
	s_and_b32 vcc_lo, exec_lo, s25
	s_cbranch_vccz .LBB14_830
; %bb.813:
	s_cmp_lt_i32 s21, 27
	s_cbranch_scc1 .LBB14_816
; %bb.814:
	s_cmp_gt_i32 s21, 27
	s_cbranch_scc0 .LBB14_817
; %bb.815:
	s_wait_loadcnt 0x0
	global_load_b32 v2, v[0:1], off
	s_mov_b32 s24, 0
	s_wait_loadcnt 0x0
	v_cvt_f32_u32_e32 v4, v2
	s_branch .LBB14_818
.LBB14_816:
	s_mov_b32 s24, -1
                                        ; implicit-def: $vgpr4
	s_branch .LBB14_821
.LBB14_817:
	s_mov_b32 s24, -1
                                        ; implicit-def: $vgpr4
.LBB14_818:
	s_delay_alu instid0(SALU_CYCLE_1)
	s_and_not1_b32 vcc_lo, exec_lo, s24
	s_cbranch_vccnz .LBB14_820
; %bb.819:
	s_wait_loadcnt 0x0
	global_load_u16 v2, v[0:1], off
	s_wait_loadcnt 0x0
	v_cvt_f32_u32_e32 v4, v2
.LBB14_820:
	s_mov_b32 s24, 0
.LBB14_821:
	s_delay_alu instid0(SALU_CYCLE_1)
	s_and_not1_b32 vcc_lo, exec_lo, s24
	s_cbranch_vccnz .LBB14_829
; %bb.822:
	s_wait_loadcnt 0x0
	global_load_u8 v2, v[0:1], off
	s_mov_b32 s24, 0
	s_mov_b32 s25, exec_lo
	s_wait_loadcnt 0x0
	v_cmpx_lt_i16_e32 0x7f, v2
	s_xor_b32 s25, exec_lo, s25
	s_cbranch_execz .LBB14_843
; %bb.823:
	s_mov_b32 s24, -1
	s_mov_b32 s26, exec_lo
	v_cmpx_eq_u16_e32 0x80, v2
; %bb.824:
	s_xor_b32 s24, exec_lo, -1
; %bb.825:
	s_or_b32 exec_lo, exec_lo, s26
	s_delay_alu instid0(SALU_CYCLE_1)
	s_and_b32 s24, s24, exec_lo
	s_or_saveexec_b32 s25, s25
	v_mov_b32_e32 v4, 0x7f800001
	s_xor_b32 exec_lo, exec_lo, s25
	s_cbranch_execnz .LBB14_844
.LBB14_826:
	s_or_b32 exec_lo, exec_lo, s25
	s_and_saveexec_b32 s25, s24
	s_cbranch_execz .LBB14_828
.LBB14_827:
	v_and_b32_e32 v3, 0xffff, v2
	s_delay_alu instid0(VALU_DEP_1) | instskip(SKIP_1) | instid1(VALU_DEP_2)
	v_and_b32_e32 v4, 7, v3
	v_bfe_u32 v7, v3, 3, 4
	v_clz_i32_u32_e32 v5, v4
	s_delay_alu instid0(VALU_DEP_2) | instskip(NEXT) | instid1(VALU_DEP_2)
	v_cmp_eq_u32_e32 vcc_lo, 0, v7
	v_min_u32_e32 v5, 32, v5
	s_delay_alu instid0(VALU_DEP_1) | instskip(NEXT) | instid1(VALU_DEP_1)
	v_subrev_nc_u32_e32 v6, 28, v5
	v_dual_lshlrev_b32 v3, v6, v3 :: v_dual_sub_nc_u32 v5, 29, v5
	s_delay_alu instid0(VALU_DEP_1) | instskip(NEXT) | instid1(VALU_DEP_1)
	v_dual_lshlrev_b32 v2, 24, v2 :: v_dual_bitop2_b32 v3, 7, v3 bitop3:0x40
	v_dual_cndmask_b32 v5, v7, v5, vcc_lo :: v_dual_cndmask_b32 v3, v4, v3, vcc_lo
	s_delay_alu instid0(VALU_DEP_2) | instskip(NEXT) | instid1(VALU_DEP_2)
	v_and_b32_e32 v2, 0x80000000, v2
	v_lshl_add_u32 v4, v5, 23, 0x3b800000
	s_delay_alu instid0(VALU_DEP_3) | instskip(NEXT) | instid1(VALU_DEP_1)
	v_lshlrev_b32_e32 v3, 20, v3
	v_or3_b32 v4, v2, v4, v3
.LBB14_828:
	s_or_b32 exec_lo, exec_lo, s25
.LBB14_829:
	s_mov_b32 s24, -1
.LBB14_830:
	s_mov_b32 s25, 0
.LBB14_831:
	s_delay_alu instid0(SALU_CYCLE_1)
	s_and_b32 vcc_lo, exec_lo, s25
	s_cbranch_vccz .LBB14_864
; %bb.832:
	s_cmp_gt_i32 s21, 22
	s_cbranch_scc0 .LBB14_842
; %bb.833:
	s_cmp_lt_i32 s21, 24
	s_cbranch_scc1 .LBB14_845
; %bb.834:
	s_cmp_gt_i32 s21, 24
	s_cbranch_scc0 .LBB14_846
; %bb.835:
	s_wait_loadcnt 0x0
	global_load_u8 v2, v[0:1], off
	s_mov_b32 s24, exec_lo
	s_wait_loadcnt 0x0
	v_cmpx_lt_i16_e32 0x7f, v2
	s_xor_b32 s24, exec_lo, s24
	s_cbranch_execz .LBB14_858
; %bb.836:
	s_mov_b32 s23, -1
	s_mov_b32 s25, exec_lo
	v_cmpx_eq_u16_e32 0x80, v2
; %bb.837:
	s_xor_b32 s23, exec_lo, -1
; %bb.838:
	s_or_b32 exec_lo, exec_lo, s25
	s_delay_alu instid0(SALU_CYCLE_1)
	s_and_b32 s23, s23, exec_lo
	s_or_saveexec_b32 s24, s24
	v_mov_b32_e32 v4, 0x7f800001
	s_xor_b32 exec_lo, exec_lo, s24
	s_cbranch_execnz .LBB14_859
.LBB14_839:
	s_or_b32 exec_lo, exec_lo, s24
	s_and_saveexec_b32 s24, s23
	s_cbranch_execz .LBB14_841
.LBB14_840:
	v_and_b32_e32 v3, 0xffff, v2
	s_delay_alu instid0(VALU_DEP_1) | instskip(SKIP_1) | instid1(VALU_DEP_2)
	v_and_b32_e32 v4, 3, v3
	v_bfe_u32 v7, v3, 2, 5
	v_clz_i32_u32_e32 v5, v4
	s_delay_alu instid0(VALU_DEP_2) | instskip(NEXT) | instid1(VALU_DEP_2)
	v_cmp_eq_u32_e32 vcc_lo, 0, v7
	v_min_u32_e32 v5, 32, v5
	s_delay_alu instid0(VALU_DEP_1) | instskip(NEXT) | instid1(VALU_DEP_1)
	v_subrev_nc_u32_e32 v6, 29, v5
	v_dual_lshlrev_b32 v3, v6, v3 :: v_dual_sub_nc_u32 v5, 30, v5
	s_delay_alu instid0(VALU_DEP_1) | instskip(NEXT) | instid1(VALU_DEP_1)
	v_dual_lshlrev_b32 v2, 24, v2 :: v_dual_bitop2_b32 v3, 3, v3 bitop3:0x40
	v_dual_cndmask_b32 v5, v7, v5, vcc_lo :: v_dual_cndmask_b32 v3, v4, v3, vcc_lo
	s_delay_alu instid0(VALU_DEP_2) | instskip(NEXT) | instid1(VALU_DEP_2)
	v_and_b32_e32 v2, 0x80000000, v2
	v_lshl_add_u32 v4, v5, 23, 0x37800000
	s_delay_alu instid0(VALU_DEP_3) | instskip(NEXT) | instid1(VALU_DEP_1)
	v_lshlrev_b32_e32 v3, 21, v3
	v_or3_b32 v4, v2, v4, v3
.LBB14_841:
	s_or_b32 exec_lo, exec_lo, s24
	s_mov_b32 s23, 0
	s_branch .LBB14_847
.LBB14_842:
	s_mov_b32 s23, -1
                                        ; implicit-def: $vgpr4
	s_branch .LBB14_853
.LBB14_843:
	s_or_saveexec_b32 s25, s25
	v_mov_b32_e32 v4, 0x7f800001
	s_xor_b32 exec_lo, exec_lo, s25
	s_cbranch_execz .LBB14_826
.LBB14_844:
	v_cmp_ne_u16_e32 vcc_lo, 0, v2
	v_mov_b32_e32 v4, 0
	s_and_not1_b32 s24, s24, exec_lo
	s_and_b32 s26, vcc_lo, exec_lo
	s_delay_alu instid0(SALU_CYCLE_1)
	s_or_b32 s24, s24, s26
	s_or_b32 exec_lo, exec_lo, s25
	s_and_saveexec_b32 s25, s24
	s_cbranch_execnz .LBB14_827
	s_branch .LBB14_828
.LBB14_845:
	s_mov_b32 s23, -1
                                        ; implicit-def: $vgpr4
	s_branch .LBB14_850
.LBB14_846:
	s_mov_b32 s23, -1
                                        ; implicit-def: $vgpr4
.LBB14_847:
	s_delay_alu instid0(SALU_CYCLE_1)
	s_and_b32 vcc_lo, exec_lo, s23
	s_cbranch_vccz .LBB14_849
; %bb.848:
	s_wait_loadcnt 0x0
	global_load_u8 v2, v[0:1], off
	s_wait_loadcnt 0x0
	v_lshlrev_b32_e32 v2, 24, v2
	s_delay_alu instid0(VALU_DEP_1) | instskip(NEXT) | instid1(VALU_DEP_1)
	v_and_b32_e32 v3, 0x7f000000, v2
	v_clz_i32_u32_e32 v4, v3
	v_cmp_ne_u32_e32 vcc_lo, 0, v3
	v_add_nc_u32_e32 v6, 0x1000000, v3
	s_delay_alu instid0(VALU_DEP_3) | instskip(NEXT) | instid1(VALU_DEP_1)
	v_min_u32_e32 v4, 32, v4
	v_sub_nc_u32_e64 v4, v4, 4 clamp
	s_delay_alu instid0(VALU_DEP_1) | instskip(NEXT) | instid1(VALU_DEP_1)
	v_dual_lshlrev_b32 v5, v4, v3 :: v_dual_lshlrev_b32 v4, 23, v4
	v_lshrrev_b32_e32 v5, 4, v5
	s_delay_alu instid0(VALU_DEP_1) | instskip(NEXT) | instid1(VALU_DEP_1)
	v_dual_sub_nc_u32 v4, v5, v4 :: v_dual_ashrrev_i32 v5, 8, v6
	v_add_nc_u32_e32 v4, 0x3c000000, v4
	s_delay_alu instid0(VALU_DEP_1) | instskip(NEXT) | instid1(VALU_DEP_1)
	v_and_or_b32 v4, 0x7f800000, v5, v4
	v_cndmask_b32_e32 v3, 0, v4, vcc_lo
	s_delay_alu instid0(VALU_DEP_1)
	v_and_or_b32 v4, 0x80000000, v2, v3
.LBB14_849:
	s_mov_b32 s23, 0
.LBB14_850:
	s_delay_alu instid0(SALU_CYCLE_1)
	s_and_not1_b32 vcc_lo, exec_lo, s23
	s_cbranch_vccnz .LBB14_852
; %bb.851:
	s_wait_loadcnt 0x0
	global_load_u8 v2, v[0:1], off
	s_wait_loadcnt 0x0
	v_lshlrev_b32_e32 v3, 25, v2
	v_lshlrev_b16 v2, 8, v2
	s_delay_alu instid0(VALU_DEP_1) | instskip(SKIP_1) | instid1(VALU_DEP_2)
	v_and_or_b32 v5, 0x7f00, v2, 0.5
	v_bfe_i32 v2, v2, 0, 16
	v_dual_add_f32 v5, -0.5, v5 :: v_dual_lshrrev_b32 v4, 4, v3
	v_cmp_gt_u32_e32 vcc_lo, 0x8000000, v3
	s_delay_alu instid0(VALU_DEP_2) | instskip(NEXT) | instid1(VALU_DEP_1)
	v_or_b32_e32 v4, 0x70000000, v4
	v_mul_f32_e32 v4, 0x7800000, v4
	s_delay_alu instid0(VALU_DEP_1) | instskip(NEXT) | instid1(VALU_DEP_1)
	v_cndmask_b32_e32 v3, v4, v5, vcc_lo
	v_and_or_b32 v4, 0x80000000, v2, v3
.LBB14_852:
	s_mov_b32 s23, 0
	s_mov_b32 s24, -1
.LBB14_853:
	s_and_not1_b32 vcc_lo, exec_lo, s23
	s_mov_b32 s23, 0
	s_cbranch_vccnz .LBB14_864
; %bb.854:
	s_cmp_gt_i32 s21, 14
	s_cbranch_scc0 .LBB14_857
; %bb.855:
	s_cmp_eq_u32 s21, 15
	s_cbranch_scc0 .LBB14_860
; %bb.856:
	s_wait_loadcnt 0x0
	global_load_u16 v2, v[0:1], off
	s_mov_b32 s22, 0
	s_mov_b32 s24, -1
	s_wait_loadcnt 0x0
	v_lshlrev_b32_e32 v4, 16, v2
	s_branch .LBB14_862
.LBB14_857:
	s_mov_b32 s23, -1
	s_branch .LBB14_861
.LBB14_858:
	s_or_saveexec_b32 s24, s24
	v_mov_b32_e32 v4, 0x7f800001
	s_xor_b32 exec_lo, exec_lo, s24
	s_cbranch_execz .LBB14_839
.LBB14_859:
	v_cmp_ne_u16_e32 vcc_lo, 0, v2
	v_mov_b32_e32 v4, 0
	s_and_not1_b32 s23, s23, exec_lo
	s_and_b32 s25, vcc_lo, exec_lo
	s_delay_alu instid0(SALU_CYCLE_1)
	s_or_b32 s23, s23, s25
	s_or_b32 exec_lo, exec_lo, s24
	s_and_saveexec_b32 s24, s23
	s_cbranch_execnz .LBB14_840
	s_branch .LBB14_841
.LBB14_860:
	s_mov_b32 s22, -1
.LBB14_861:
                                        ; implicit-def: $vgpr4
.LBB14_862:
	s_and_b32 vcc_lo, exec_lo, s23
	s_mov_b32 s23, 0
	s_cbranch_vccz .LBB14_864
; %bb.863:
	s_cmp_lg_u32 s21, 11
	s_mov_b32 s23, -1
	s_cselect_b32 s21, -1, 0
	s_and_not1_b32 s22, s22, exec_lo
	s_and_b32 s21, s21, exec_lo
	s_delay_alu instid0(SALU_CYCLE_1)
	s_or_b32 s22, s22, s21
.LBB14_864:
	s_mov_b32 s21, 0
.LBB14_865:
	s_and_not1_b32 s26, s0, exec_lo
	s_and_b32 s22, s22, exec_lo
	s_and_b32 s24, s24, exec_lo
	;; [unrolled: 1-line block ×4, first 2 shown]
	s_or_b32 s22, s26, s22
.LBB14_866:
	s_wait_xcnt 0x0
	s_or_b32 exec_lo, exec_lo, s13
	s_delay_alu instid0(SALU_CYCLE_1)
	s_and_not1_b32 s0, s0, exec_lo
	s_and_b32 s13, s22, exec_lo
	s_and_b32 s24, s24, exec_lo
	;; [unrolled: 1-line block ×4, first 2 shown]
	s_or_b32 s0, s0, s13
.LBB14_867:
	s_or_b32 exec_lo, exec_lo, s19
	s_delay_alu instid0(SALU_CYCLE_1)
	s_and_not1_b32 s13, s17, exec_lo
	s_and_b32 s17, s20, exec_lo
	s_and_b32 s0, s0, exec_lo
	s_or_b32 s17, s13, s17
	s_and_not1_b32 s13, s16, exec_lo
	s_and_b32 s21, s24, exec_lo
	s_and_b32 s20, s23, exec_lo
	;; [unrolled: 1-line block ×3, first 2 shown]
	s_or_b32 s16, s13, s0
.LBB14_868:
	s_or_b32 exec_lo, exec_lo, s18
	s_delay_alu instid0(SALU_CYCLE_1)
	s_and_not1_b32 s0, s12, exec_lo
	s_and_b32 s12, s17, exec_lo
	s_and_not1_b32 s13, s14, exec_lo
	s_and_b32 s14, s16, exec_lo
	s_or_b32 s12, s0, s12
	s_and_b32 s0, s21, exec_lo
	s_and_b32 s17, s20, exec_lo
	;; [unrolled: 1-line block ×3, first 2 shown]
	s_or_b32 s14, s13, s14
	s_or_b32 exec_lo, exec_lo, s15
	s_mov_b32 s13, 0
	s_and_saveexec_b32 s15, s14
	s_cbranch_execz .LBB14_264
.LBB14_869:
	s_mov_b32 s13, exec_lo
	s_and_not1_b32 s16, s16, exec_lo
	s_trap 2
	s_or_b32 exec_lo, exec_lo, s15
	s_and_saveexec_b32 s14, s16
	s_delay_alu instid0(SALU_CYCLE_1)
	s_xor_b32 s14, exec_lo, s14
	s_cbranch_execnz .LBB14_265
.LBB14_870:
	s_or_b32 exec_lo, exec_lo, s14
	s_and_saveexec_b32 s14, s17
	s_cbranch_execz .LBB14_916
.LBB14_871:
	s_sext_i32_i16 s15, s2
	s_delay_alu instid0(SALU_CYCLE_1)
	s_cmp_lt_i32 s15, 5
	s_cbranch_scc1 .LBB14_876
; %bb.872:
	s_cmp_lt_i32 s15, 8
	s_cbranch_scc1 .LBB14_877
; %bb.873:
	;; [unrolled: 3-line block ×3, first 2 shown]
	s_cmp_gt_i32 s15, 9
	s_cbranch_scc0 .LBB14_879
; %bb.875:
	s_wait_loadcnt 0x0
	global_load_b64 v[2:3], v[0:1], off
	s_mov_b32 s15, 0
	s_wait_loadcnt 0x0
	v_cvt_f32_f64_e32 v4, v[2:3]
	s_branch .LBB14_880
.LBB14_876:
                                        ; implicit-def: $vgpr4
	s_branch .LBB14_897
.LBB14_877:
                                        ; implicit-def: $vgpr4
	s_branch .LBB14_886
.LBB14_878:
	s_mov_b32 s15, -1
                                        ; implicit-def: $vgpr4
	s_branch .LBB14_883
.LBB14_879:
	s_mov_b32 s15, -1
                                        ; implicit-def: $vgpr4
.LBB14_880:
	s_delay_alu instid0(SALU_CYCLE_1)
	s_and_not1_b32 vcc_lo, exec_lo, s15
	s_cbranch_vccnz .LBB14_882
; %bb.881:
	global_load_b32 v4, v[0:1], off
.LBB14_882:
	s_mov_b32 s15, 0
.LBB14_883:
	s_delay_alu instid0(SALU_CYCLE_1)
	s_and_not1_b32 vcc_lo, exec_lo, s15
	s_cbranch_vccnz .LBB14_885
; %bb.884:
	s_wait_loadcnt 0x0
	global_load_b32 v2, v[0:1], off
	s_wait_loadcnt 0x0
	v_cvt_f32_f16_e32 v4, v2
.LBB14_885:
	s_cbranch_execnz .LBB14_896
.LBB14_886:
	s_sext_i32_i16 s15, s2
	s_delay_alu instid0(SALU_CYCLE_1)
	s_cmp_lt_i32 s15, 6
	s_cbranch_scc1 .LBB14_889
; %bb.887:
	s_cmp_gt_i32 s15, 6
	s_cbranch_scc0 .LBB14_890
; %bb.888:
	s_wait_loadcnt 0x0
	global_load_b64 v[2:3], v[0:1], off
	s_mov_b32 s15, 0
	s_wait_loadcnt 0x0
	v_cvt_f32_f64_e32 v4, v[2:3]
	s_branch .LBB14_891
.LBB14_889:
	s_mov_b32 s15, -1
                                        ; implicit-def: $vgpr4
	s_branch .LBB14_894
.LBB14_890:
	s_mov_b32 s15, -1
                                        ; implicit-def: $vgpr4
.LBB14_891:
	s_delay_alu instid0(SALU_CYCLE_1)
	s_and_not1_b32 vcc_lo, exec_lo, s15
	s_cbranch_vccnz .LBB14_893
; %bb.892:
	s_wait_loadcnt 0x0
	global_load_b32 v4, v[0:1], off
.LBB14_893:
	s_mov_b32 s15, 0
.LBB14_894:
	s_delay_alu instid0(SALU_CYCLE_1)
	s_and_not1_b32 vcc_lo, exec_lo, s15
	s_cbranch_vccnz .LBB14_896
; %bb.895:
	s_wait_loadcnt 0x0
	global_load_u16 v2, v[0:1], off
	s_wait_loadcnt 0x0
	v_cvt_f32_f16_e32 v4, v2
.LBB14_896:
	s_cbranch_execnz .LBB14_915
.LBB14_897:
	s_sext_i32_i16 s15, s2
	s_delay_alu instid0(SALU_CYCLE_1)
	s_cmp_lt_i32 s15, 2
	s_cbranch_scc1 .LBB14_901
; %bb.898:
	s_cmp_lt_i32 s15, 3
	s_cbranch_scc1 .LBB14_902
; %bb.899:
	s_cmp_gt_i32 s15, 3
	s_cbranch_scc0 .LBB14_903
; %bb.900:
	s_wait_loadcnt 0x0
	global_load_b64 v[2:3], v[0:1], off
	s_mov_b32 s15, 0
	s_wait_loadcnt 0x0
	v_xor_b32_e32 v4, v2, v3
	v_cls_i32_e32 v5, v3
	s_delay_alu instid0(VALU_DEP_2) | instskip(NEXT) | instid1(VALU_DEP_1)
	v_ashrrev_i32_e32 v4, 31, v4
	v_add_nc_u32_e32 v4, 32, v4
	s_delay_alu instid0(VALU_DEP_1) | instskip(NEXT) | instid1(VALU_DEP_1)
	v_add_min_u32_e64 v4, v5, -1, v4
	v_lshlrev_b64_e32 v[2:3], v4, v[2:3]
	s_delay_alu instid0(VALU_DEP_1) | instskip(NEXT) | instid1(VALU_DEP_1)
	v_min_u32_e32 v2, 1, v2
	v_dual_sub_nc_u32 v3, 32, v4 :: v_dual_bitop2_b32 v2, v3, v2 bitop3:0x54
	s_delay_alu instid0(VALU_DEP_1) | instskip(NEXT) | instid1(VALU_DEP_1)
	v_cvt_f32_i32_e32 v2, v2
	v_ldexp_f32 v4, v2, v3
	s_branch .LBB14_904
.LBB14_901:
                                        ; implicit-def: $vgpr4
	s_branch .LBB14_910
.LBB14_902:
	s_mov_b32 s15, -1
                                        ; implicit-def: $vgpr4
	s_branch .LBB14_907
.LBB14_903:
	s_mov_b32 s15, -1
                                        ; implicit-def: $vgpr4
.LBB14_904:
	s_delay_alu instid0(SALU_CYCLE_1)
	s_and_not1_b32 vcc_lo, exec_lo, s15
	s_cbranch_vccnz .LBB14_906
; %bb.905:
	s_wait_loadcnt 0x0
	global_load_b32 v2, v[0:1], off
	s_wait_loadcnt 0x0
	v_cvt_f32_i32_e32 v4, v2
.LBB14_906:
	s_mov_b32 s15, 0
.LBB14_907:
	s_delay_alu instid0(SALU_CYCLE_1)
	s_and_not1_b32 vcc_lo, exec_lo, s15
	s_cbranch_vccnz .LBB14_909
; %bb.908:
	s_wait_loadcnt 0x0
	global_load_i16 v2, v[0:1], off
	s_wait_loadcnt 0x0
	v_cvt_f32_i32_e32 v4, v2
.LBB14_909:
	s_cbranch_execnz .LBB14_915
.LBB14_910:
	s_sext_i32_i16 s15, s2
	s_delay_alu instid0(SALU_CYCLE_1)
	s_cmp_gt_i32 s15, 0
	s_mov_b32 s15, 0
	s_cbranch_scc0 .LBB14_912
; %bb.911:
	s_wait_loadcnt 0x0
	global_load_i8 v2, v[0:1], off
	s_wait_loadcnt 0x0
	v_cvt_f32_i32_e32 v4, v2
	s_branch .LBB14_913
.LBB14_912:
	s_mov_b32 s15, -1
                                        ; implicit-def: $vgpr4
.LBB14_913:
	s_delay_alu instid0(SALU_CYCLE_1)
	s_and_not1_b32 vcc_lo, exec_lo, s15
	s_cbranch_vccnz .LBB14_915
; %bb.914:
	global_load_u8 v0, v[0:1], off
	s_wait_loadcnt 0x0
	v_cvt_f32_ubyte0_e32 v4, v0
.LBB14_915:
	s_or_b32 s0, s0, exec_lo
.LBB14_916:
	s_wait_xcnt 0x0
	s_or_b32 exec_lo, exec_lo, s14
	s_mov_b32 s17, 0
	s_mov_b32 s16, 0
                                        ; implicit-def: $sgpr14
                                        ; implicit-def: $vgpr2_vgpr3
                                        ; implicit-def: $vgpr0
	s_and_saveexec_b32 s15, s0
	s_cbranch_execz .LBB14_926
; %bb.917:
	v_mov_b32_e32 v0, 1.0
	s_mov_b32 s0, exec_lo
	s_wait_loadcnt 0x0
	s_delay_alu instid0(VALU_DEP_2)
	v_cmpx_lt_f32_e32 s10, v4
	s_cbranch_execz .LBB14_919
; %bb.918:
	v_add_f32_e32 v0, 0x33d6bf95, v4
	s_delay_alu instid0(VALU_DEP_1) | instskip(NEXT) | instid1(VALU_DEP_1)
	v_div_scale_f32 v1, null, v0, v0, s10
	v_rcp_f32_e32 v2, v1
	v_nop
	s_delay_alu instid0(TRANS32_DEP_1) | instskip(NEXT) | instid1(VALU_DEP_1)
	v_fma_f32 v3, -v1, v2, 1.0
	v_fmac_f32_e32 v2, v3, v2
	v_div_scale_f32 v3, vcc_lo, s10, v0, s10
	s_delay_alu instid0(VALU_DEP_1) | instskip(NEXT) | instid1(VALU_DEP_1)
	v_mul_f32_e32 v4, v3, v2
	v_fma_f32 v5, -v1, v4, v3
	s_delay_alu instid0(VALU_DEP_1) | instskip(NEXT) | instid1(VALU_DEP_1)
	v_fmac_f32_e32 v4, v5, v2
	v_fma_f32 v1, -v1, v4, v3
	s_delay_alu instid0(VALU_DEP_1) | instskip(NEXT) | instid1(VALU_DEP_1)
	v_div_fmas_f32 v1, v1, v2, v4
	v_div_fixup_f32 v0, v1, v0, s10
.LBB14_919:
	s_or_b32 exec_lo, exec_lo, s0
	v_mul_lo_u32 v2, v8, s8
	s_and_b32 s14, s11, 0xff
	s_delay_alu instid0(SALU_CYCLE_1) | instskip(NEXT) | instid1(VALU_DEP_1)
	s_cmp_lt_i32 s14, 11
	v_ashrrev_i32_e32 v3, 31, v2
	s_delay_alu instid0(VALU_DEP_1)
	v_add_nc_u64_e32 v[2:3], s[4:5], v[2:3]
	s_cbranch_scc1 .LBB14_929
; %bb.920:
	s_and_b32 s16, 0xffff, s14
	s_mov_b32 s17, -1
	s_cmp_gt_i32 s16, 25
	s_mov_b32 s0, s12
	s_cbranch_scc0 .LBB14_957
; %bb.921:
	s_cmp_gt_i32 s16, 28
	s_mov_b32 s0, s12
	s_cbranch_scc0 .LBB14_941
; %bb.922:
	;; [unrolled: 4-line block ×4, first 2 shown]
	s_cmp_eq_u32 s16, 46
	s_mov_b32 s0, -1
	s_cbranch_scc0 .LBB14_930
; %bb.925:
	v_bfe_u32 v1, v0, 16, 1
	v_cmp_o_f32_e32 vcc_lo, v0, v0
	s_mov_b32 s0, 0
	s_mov_b32 s17, 0
	s_delay_alu instid0(VALU_DEP_2) | instskip(NEXT) | instid1(VALU_DEP_1)
	v_add3_u32 v1, v0, v1, 0x7fff
	v_lshrrev_b32_e32 v1, 16, v1
	s_delay_alu instid0(VALU_DEP_1)
	v_cndmask_b32_e32 v1, 0x7fc0, v1, vcc_lo
	global_store_b32 v[2:3], v1, off
	s_branch .LBB14_931
.LBB14_926:
	s_or_b32 exec_lo, exec_lo, s15
	s_and_saveexec_b32 s0, s12
	s_cbranch_execnz .LBB14_999
.LBB14_927:
	s_or_b32 exec_lo, exec_lo, s0
	s_and_saveexec_b32 s0, s17
	s_delay_alu instid0(SALU_CYCLE_1)
	s_xor_b32 s0, exec_lo, s0
	s_cbranch_execz .LBB14_1000
.LBB14_928:
	v_cmp_neq_f32_e32 vcc_lo, 0, v0
	v_cndmask_b32_e64 v1, 0, 1, vcc_lo
	s_wait_loadcnt 0x0
	global_store_b8 v[2:3], v1, off
	s_wait_xcnt 0x0
	s_or_b32 exec_lo, exec_lo, s0
	s_and_saveexec_b32 s0, s16
	s_delay_alu instid0(SALU_CYCLE_1)
	s_xor_b32 s0, exec_lo, s0
	s_cbranch_execz .LBB14_1038
	s_branch .LBB14_1001
.LBB14_929:
	s_mov_b32 s18, 0
	s_mov_b32 s17, -1
	s_mov_b32 s0, s12
	s_branch .LBB14_998
.LBB14_930:
	s_mov_b32 s17, 0
.LBB14_931:
	s_delay_alu instid0(SALU_CYCLE_1)
	s_and_b32 vcc_lo, exec_lo, s17
	s_cbranch_vccz .LBB14_936
; %bb.932:
	s_cmp_eq_u32 s16, 44
	s_mov_b32 s0, -1
	s_cbranch_scc0 .LBB14_936
; %bb.933:
	v_bfe_u32 v4, v0, 23, 8
	s_wait_xcnt 0x0
	v_mov_b32_e32 v1, 0xff
	s_mov_b32 s17, exec_lo
	s_delay_alu instid0(VALU_DEP_2)
	v_cmpx_ne_u32_e32 0xff, v4
	s_cbranch_execz .LBB14_935
; %bb.934:
	v_and_b32_e32 v1, 0x400000, v0
	v_and_or_b32 v4, 0x3fffff, v0, v4
	s_delay_alu instid0(VALU_DEP_2) | instskip(NEXT) | instid1(VALU_DEP_2)
	v_cmp_ne_u32_e32 vcc_lo, 0, v1
	v_cmp_ne_u32_e64 s0, 0, v4
	v_lshrrev_b32_e32 v1, 23, v0
	s_and_b32 s0, vcc_lo, s0
	s_delay_alu instid0(SALU_CYCLE_1) | instskip(NEXT) | instid1(VALU_DEP_1)
	v_cndmask_b32_e64 v4, 0, 1, s0
	v_add_nc_u32_e32 v1, v1, v4
.LBB14_935:
	s_or_b32 exec_lo, exec_lo, s17
	s_mov_b32 s0, 0
	global_store_b8 v[2:3], v1, off
.LBB14_936:
	s_mov_b32 s17, 0
.LBB14_937:
	s_delay_alu instid0(SALU_CYCLE_1)
	s_and_b32 vcc_lo, exec_lo, s17
	s_cbranch_vccz .LBB14_940
; %bb.938:
	s_cmp_eq_u32 s16, 29
	s_mov_b32 s0, -1
	s_cbranch_scc0 .LBB14_940
; %bb.939:
	s_wait_xcnt 0x0
	v_trunc_f32_e32 v1, v0
	s_mov_b32 s0, 0
	s_mov_b32 s17, 0
	s_delay_alu instid0(VALU_DEP_1) | instskip(NEXT) | instid1(VALU_DEP_1)
	v_mul_f32_e32 v4, 0x2f800000, v1
	v_floor_f32_e32 v4, v4
	s_delay_alu instid0(VALU_DEP_1) | instskip(SKIP_1) | instid1(VALU_DEP_2)
	v_fmamk_f32 v1, v4, 0xcf800000, v1
	v_cvt_u32_f32_e32 v5, v4
	v_cvt_u32_f32_e32 v4, v1
	global_store_b64 v[2:3], v[4:5], off
	s_branch .LBB14_941
.LBB14_940:
	s_mov_b32 s17, 0
.LBB14_941:
	s_delay_alu instid0(SALU_CYCLE_1)
	s_and_b32 vcc_lo, exec_lo, s17
	s_cbranch_vccz .LBB14_956
; %bb.942:
	s_cmp_lt_i32 s16, 27
	s_mov_b32 s17, -1
	s_cbranch_scc1 .LBB14_948
; %bb.943:
	s_wait_xcnt 0x0
	v_cvt_u32_f32_e32 v1, v0
	s_cmp_gt_i32 s16, 27
	s_cbranch_scc0 .LBB14_945
; %bb.944:
	s_mov_b32 s17, 0
	global_store_b32 v[2:3], v1, off
.LBB14_945:
	s_and_not1_b32 vcc_lo, exec_lo, s17
	s_cbranch_vccnz .LBB14_947
; %bb.946:
	global_store_b16 v[2:3], v1, off
.LBB14_947:
	s_mov_b32 s17, 0
.LBB14_948:
	s_delay_alu instid0(SALU_CYCLE_1)
	s_and_not1_b32 vcc_lo, exec_lo, s17
	s_cbranch_vccnz .LBB14_956
; %bb.949:
	s_wait_xcnt 0x0
	v_and_b32_e32 v1, 0x7fffffff, v0
	v_mov_b32_e32 v4, 0x80
	s_mov_b32 s17, exec_lo
	s_delay_alu instid0(VALU_DEP_2)
	v_cmpx_gt_u32_e32 0x43800000, v1
	s_cbranch_execz .LBB14_955
; %bb.950:
	v_cmp_lt_u32_e32 vcc_lo, 0x3bffffff, v1
	s_mov_b32 s18, 0
                                        ; implicit-def: $vgpr1
	s_and_saveexec_b32 s19, vcc_lo
	s_delay_alu instid0(SALU_CYCLE_1)
	s_xor_b32 s19, exec_lo, s19
	s_cbranch_execz .LBB14_1053
; %bb.951:
	v_bfe_u32 v1, v0, 20, 1
	s_mov_b32 s18, exec_lo
	s_delay_alu instid0(VALU_DEP_1) | instskip(NEXT) | instid1(VALU_DEP_1)
	v_add3_u32 v1, v0, v1, 0x487ffff
	v_lshrrev_b32_e32 v1, 20, v1
	s_and_not1_saveexec_b32 s19, s19
	s_cbranch_execnz .LBB14_1054
.LBB14_952:
	s_or_b32 exec_lo, exec_lo, s19
	v_mov_b32_e32 v4, 0
	s_and_saveexec_b32 s19, s18
.LBB14_953:
	v_lshrrev_b32_e32 v4, 24, v0
	s_delay_alu instid0(VALU_DEP_1)
	v_and_or_b32 v4, 0x80, v4, v1
.LBB14_954:
	s_or_b32 exec_lo, exec_lo, s19
.LBB14_955:
	s_delay_alu instid0(SALU_CYCLE_1)
	s_or_b32 exec_lo, exec_lo, s17
	global_store_b8 v[2:3], v4, off
.LBB14_956:
	s_mov_b32 s17, 0
.LBB14_957:
	s_delay_alu instid0(SALU_CYCLE_1)
	s_and_b32 vcc_lo, exec_lo, s17
	s_mov_b32 s17, 0
	s_cbranch_vccz .LBB14_997
; %bb.958:
	s_cmp_gt_i32 s16, 22
	s_mov_b32 s18, -1
	s_cbranch_scc0 .LBB14_990
; %bb.959:
	s_cmp_lt_i32 s16, 24
	s_cbranch_scc1 .LBB14_979
; %bb.960:
	s_cmp_gt_i32 s16, 24
	s_cbranch_scc0 .LBB14_968
; %bb.961:
	s_wait_xcnt 0x0
	v_and_b32_e32 v1, 0x7fffffff, v0
	v_mov_b32_e32 v4, 0x80
	s_mov_b32 s18, exec_lo
	s_delay_alu instid0(VALU_DEP_2)
	v_cmpx_gt_u32_e32 0x47800000, v1
	s_cbranch_execz .LBB14_967
; %bb.962:
	v_cmp_lt_u32_e32 vcc_lo, 0x37ffffff, v1
	s_mov_b32 s19, 0
                                        ; implicit-def: $vgpr1
	s_and_saveexec_b32 s20, vcc_lo
	s_delay_alu instid0(SALU_CYCLE_1)
	s_xor_b32 s20, exec_lo, s20
	s_cbranch_execz .LBB14_1181
; %bb.963:
	v_bfe_u32 v1, v0, 21, 1
	s_mov_b32 s19, exec_lo
	s_delay_alu instid0(VALU_DEP_1) | instskip(NEXT) | instid1(VALU_DEP_1)
	v_add3_u32 v1, v0, v1, 0x88fffff
	v_lshrrev_b32_e32 v1, 21, v1
	s_and_not1_saveexec_b32 s20, s20
	s_cbranch_execnz .LBB14_1182
.LBB14_964:
	s_or_b32 exec_lo, exec_lo, s20
	v_mov_b32_e32 v4, 0
	s_and_saveexec_b32 s20, s19
.LBB14_965:
	v_lshrrev_b32_e32 v4, 24, v0
	s_delay_alu instid0(VALU_DEP_1)
	v_and_or_b32 v4, 0x80, v4, v1
.LBB14_966:
	s_or_b32 exec_lo, exec_lo, s20
.LBB14_967:
	s_delay_alu instid0(SALU_CYCLE_1)
	s_or_b32 exec_lo, exec_lo, s18
	s_mov_b32 s18, 0
	global_store_b8 v[2:3], v4, off
.LBB14_968:
	s_and_b32 vcc_lo, exec_lo, s18
	s_cbranch_vccz .LBB14_978
; %bb.969:
	s_wait_xcnt 0x0
	v_and_b32_e32 v4, 0x7fffffff, v0
	s_mov_b32 s18, exec_lo
                                        ; implicit-def: $vgpr1
	s_delay_alu instid0(VALU_DEP_1)
	v_cmpx_gt_u32_e32 0x43f00000, v4
	s_xor_b32 s18, exec_lo, s18
	s_cbranch_execz .LBB14_975
; %bb.970:
	s_mov_b32 s19, exec_lo
                                        ; implicit-def: $vgpr1
	v_cmpx_lt_u32_e32 0x3c7fffff, v4
	s_xor_b32 s19, exec_lo, s19
; %bb.971:
	v_bfe_u32 v1, v0, 20, 1
	s_delay_alu instid0(VALU_DEP_1) | instskip(NEXT) | instid1(VALU_DEP_1)
	v_add3_u32 v1, v0, v1, 0x407ffff
	v_and_b32_e32 v4, 0xff00000, v1
	v_lshrrev_b32_e32 v1, 20, v1
	s_delay_alu instid0(VALU_DEP_2) | instskip(NEXT) | instid1(VALU_DEP_2)
	v_cmp_ne_u32_e32 vcc_lo, 0x7f00000, v4
	v_cndmask_b32_e32 v1, 0x7e, v1, vcc_lo
; %bb.972:
	s_and_not1_saveexec_b32 s19, s19
; %bb.973:
	v_add_f32_e64 v1, 0x46800000, |v0|
; %bb.974:
	s_or_b32 exec_lo, exec_lo, s19
                                        ; implicit-def: $vgpr4
.LBB14_975:
	s_and_not1_saveexec_b32 s18, s18
; %bb.976:
	v_mov_b32_e32 v1, 0x7f
	v_cmp_lt_u32_e32 vcc_lo, 0x7f800000, v4
	s_delay_alu instid0(VALU_DEP_2)
	v_cndmask_b32_e32 v1, 0x7e, v1, vcc_lo
; %bb.977:
	s_or_b32 exec_lo, exec_lo, s18
	v_lshrrev_b32_e32 v4, 24, v0
	s_delay_alu instid0(VALU_DEP_1)
	v_and_or_b32 v1, 0x80, v4, v1
	global_store_b8 v[2:3], v1, off
.LBB14_978:
	s_mov_b32 s18, 0
.LBB14_979:
	s_delay_alu instid0(SALU_CYCLE_1)
	s_and_not1_b32 vcc_lo, exec_lo, s18
	s_cbranch_vccnz .LBB14_989
; %bb.980:
	s_wait_xcnt 0x0
	v_and_b32_e32 v4, 0x7fffffff, v0
	s_mov_b32 s18, exec_lo
                                        ; implicit-def: $vgpr1
	s_delay_alu instid0(VALU_DEP_1)
	v_cmpx_gt_u32_e32 0x47800000, v4
	s_xor_b32 s18, exec_lo, s18
	s_cbranch_execz .LBB14_986
; %bb.981:
	s_mov_b32 s19, exec_lo
                                        ; implicit-def: $vgpr1
	v_cmpx_lt_u32_e32 0x387fffff, v4
	s_xor_b32 s19, exec_lo, s19
; %bb.982:
	v_bfe_u32 v1, v0, 21, 1
	s_delay_alu instid0(VALU_DEP_1) | instskip(NEXT) | instid1(VALU_DEP_1)
	v_add3_u32 v1, v0, v1, 0x80fffff
	v_lshrrev_b32_e32 v1, 21, v1
; %bb.983:
	s_and_not1_saveexec_b32 s19, s19
; %bb.984:
	v_add_f32_e64 v1, 0x43000000, |v0|
; %bb.985:
	s_or_b32 exec_lo, exec_lo, s19
                                        ; implicit-def: $vgpr4
.LBB14_986:
	s_and_not1_saveexec_b32 s18, s18
; %bb.987:
	v_mov_b32_e32 v1, 0x7f
	v_cmp_lt_u32_e32 vcc_lo, 0x7f800000, v4
	s_delay_alu instid0(VALU_DEP_2)
	v_cndmask_b32_e32 v1, 0x7c, v1, vcc_lo
; %bb.988:
	s_or_b32 exec_lo, exec_lo, s18
	v_lshrrev_b32_e32 v4, 24, v0
	s_delay_alu instid0(VALU_DEP_1)
	v_and_or_b32 v1, 0x80, v4, v1
	global_store_b8 v[2:3], v1, off
.LBB14_989:
	s_mov_b32 s18, 0
.LBB14_990:
	s_delay_alu instid0(SALU_CYCLE_1)
	s_and_not1_b32 vcc_lo, exec_lo, s18
	s_mov_b32 s18, 0
	s_cbranch_vccnz .LBB14_998
; %bb.991:
	s_cmp_gt_i32 s16, 14
	s_mov_b32 s18, -1
	s_cbranch_scc0 .LBB14_995
; %bb.992:
	s_cmp_eq_u32 s16, 15
	s_mov_b32 s0, -1
	s_cbranch_scc0 .LBB14_994
; %bb.993:
	s_wait_xcnt 0x0
	v_bfe_u32 v1, v0, 16, 1
	v_cmp_o_f32_e32 vcc_lo, v0, v0
	s_mov_b32 s0, 0
	s_delay_alu instid0(VALU_DEP_2) | instskip(NEXT) | instid1(VALU_DEP_1)
	v_add3_u32 v1, v0, v1, 0x7fff
	v_lshrrev_b32_e32 v1, 16, v1
	s_delay_alu instid0(VALU_DEP_1)
	v_cndmask_b32_e32 v1, 0x7fc0, v1, vcc_lo
	global_store_b16 v[2:3], v1, off
.LBB14_994:
	s_mov_b32 s18, 0
.LBB14_995:
	s_delay_alu instid0(SALU_CYCLE_1)
	s_and_b32 vcc_lo, exec_lo, s18
	s_mov_b32 s18, 0
	s_cbranch_vccz .LBB14_998
; %bb.996:
	s_cmp_lg_u32 s16, 11
	s_mov_b32 s18, -1
	s_cselect_b32 s16, -1, 0
	s_and_not1_b32 s0, s0, exec_lo
	s_and_b32 s16, s16, exec_lo
	s_delay_alu instid0(SALU_CYCLE_1)
	s_or_b32 s0, s0, s16
	s_branch .LBB14_998
.LBB14_997:
	s_mov_b32 s18, 0
.LBB14_998:
	s_and_not1_b32 s12, s12, exec_lo
	s_and_b32 s0, s0, exec_lo
	s_and_b32 s16, s17, exec_lo
	;; [unrolled: 1-line block ×3, first 2 shown]
	s_or_b32 s12, s12, s0
	s_wait_xcnt 0x0
	s_or_b32 exec_lo, exec_lo, s15
	s_and_saveexec_b32 s0, s12
	s_cbranch_execz .LBB14_927
.LBB14_999:
	s_or_b32 s13, s13, exec_lo
	s_and_not1_b32 s17, s17, exec_lo
	s_trap 2
	s_or_b32 exec_lo, exec_lo, s0
	s_and_saveexec_b32 s0, s17
	s_delay_alu instid0(SALU_CYCLE_1)
	s_xor_b32 s0, exec_lo, s0
	s_cbranch_execnz .LBB14_928
.LBB14_1000:
	s_or_b32 exec_lo, exec_lo, s0
	s_and_saveexec_b32 s0, s16
	s_delay_alu instid0(SALU_CYCLE_1)
	s_xor_b32 s0, exec_lo, s0
	s_cbranch_execz .LBB14_1038
.LBB14_1001:
	s_sext_i32_i16 s15, s14
	s_mov_b32 s12, -1
	s_cmp_lt_i32 s15, 5
	s_cbranch_scc1 .LBB14_1022
; %bb.1002:
	s_cmp_lt_i32 s15, 8
	s_cbranch_scc1 .LBB14_1012
; %bb.1003:
	;; [unrolled: 3-line block ×3, first 2 shown]
	s_cmp_gt_i32 s15, 9
	s_cbranch_scc0 .LBB14_1006
; %bb.1005:
	s_wait_loadcnt 0x0
	v_cvt_f64_f32_e32 v[4:5], v0
	v_mov_b32_e32 v6, 0
	s_mov_b32 s12, 0
	s_delay_alu instid0(VALU_DEP_1)
	v_mov_b32_e32 v7, v6
	global_store_b128 v[2:3], v[4:7], off
.LBB14_1006:
	s_and_not1_b32 vcc_lo, exec_lo, s12
	s_cbranch_vccnz .LBB14_1008
; %bb.1007:
	v_mov_b32_e32 v1, 0
	s_wait_loadcnt 0x0
	global_store_b64 v[2:3], v[0:1], off
.LBB14_1008:
	s_mov_b32 s12, 0
.LBB14_1009:
	s_delay_alu instid0(SALU_CYCLE_1)
	s_and_not1_b32 vcc_lo, exec_lo, s12
	s_cbranch_vccnz .LBB14_1011
; %bb.1010:
	s_wait_xcnt 0x0
	v_cvt_f16_f32_e32 v1, v0
	s_delay_alu instid0(VALU_DEP_1)
	v_and_b32_e32 v1, 0xffff, v1
	s_wait_loadcnt 0x0
	global_store_b32 v[2:3], v1, off
.LBB14_1011:
	s_mov_b32 s12, 0
.LBB14_1012:
	s_delay_alu instid0(SALU_CYCLE_1)
	s_and_not1_b32 vcc_lo, exec_lo, s12
	s_cbranch_vccnz .LBB14_1021
; %bb.1013:
	s_sext_i32_i16 s15, s14
	s_mov_b32 s12, -1
	s_cmp_lt_i32 s15, 6
	s_cbranch_scc1 .LBB14_1019
; %bb.1014:
	s_cmp_gt_i32 s15, 6
	s_cbranch_scc0 .LBB14_1016
; %bb.1015:
	s_wait_loadcnt 0x0
	v_cvt_f64_f32_e32 v[4:5], v0
	s_mov_b32 s12, 0
	global_store_b64 v[2:3], v[4:5], off
.LBB14_1016:
	s_and_not1_b32 vcc_lo, exec_lo, s12
	s_cbranch_vccnz .LBB14_1018
; %bb.1017:
	s_wait_loadcnt 0x0
	global_store_b32 v[2:3], v0, off
.LBB14_1018:
	s_mov_b32 s12, 0
.LBB14_1019:
	s_delay_alu instid0(SALU_CYCLE_1)
	s_and_not1_b32 vcc_lo, exec_lo, s12
	s_cbranch_vccnz .LBB14_1021
; %bb.1020:
	s_wait_xcnt 0x0
	v_cvt_f16_f32_e32 v1, v0
	s_wait_loadcnt 0x0
	global_store_b16 v[2:3], v1, off
.LBB14_1021:
	s_mov_b32 s12, 0
.LBB14_1022:
	s_delay_alu instid0(SALU_CYCLE_1)
	s_and_not1_b32 vcc_lo, exec_lo, s12
	s_cbranch_vccnz .LBB14_1038
; %bb.1023:
	s_sext_i32_i16 s15, s14
	s_mov_b32 s12, -1
	s_cmp_lt_i32 s15, 2
	s_cbranch_scc1 .LBB14_1033
; %bb.1024:
	s_cmp_lt_i32 s15, 3
	s_cbranch_scc1 .LBB14_1030
; %bb.1025:
	s_cmp_gt_i32 s15, 3
	s_cbranch_scc0 .LBB14_1027
; %bb.1026:
	s_wait_xcnt 0x0
	v_trunc_f32_e32 v1, v0
	s_mov_b32 s12, 0
	s_wait_loadcnt 0x0
	s_delay_alu instid0(VALU_DEP_1) | instskip(NEXT) | instid1(VALU_DEP_1)
	v_mul_f32_e64 v4, 0x2f800000, |v1|
	v_floor_f32_e32 v5, v4
	v_ashrrev_i32_e32 v4, 31, v1
	s_delay_alu instid0(VALU_DEP_2) | instskip(SKIP_1) | instid1(VALU_DEP_3)
	v_fma_f32 v6, 0xcf800000, v5, |v1|
	v_cvt_u32_f32_e32 v1, v5
	v_mov_b32_e32 v5, v4
	s_delay_alu instid0(VALU_DEP_3) | instskip(NEXT) | instid1(VALU_DEP_3)
	v_cvt_u32_f32_e32 v6, v6
	v_xor_b32_e32 v7, v1, v4
	s_delay_alu instid0(VALU_DEP_2) | instskip(NEXT) | instid1(VALU_DEP_1)
	v_xor_b32_e32 v6, v6, v4
	v_sub_nc_u64_e32 v[4:5], v[6:7], v[4:5]
	global_store_b64 v[2:3], v[4:5], off
.LBB14_1027:
	s_and_not1_b32 vcc_lo, exec_lo, s12
	s_cbranch_vccnz .LBB14_1029
; %bb.1028:
	s_wait_xcnt 0x0
	v_cvt_i32_f32_e32 v1, v0
	s_wait_loadcnt 0x0
	global_store_b32 v[2:3], v1, off
.LBB14_1029:
	s_mov_b32 s12, 0
.LBB14_1030:
	s_delay_alu instid0(SALU_CYCLE_1)
	s_and_not1_b32 vcc_lo, exec_lo, s12
	s_cbranch_vccnz .LBB14_1032
; %bb.1031:
	s_wait_xcnt 0x0
	v_cvt_i32_f32_e32 v1, v0
	s_wait_loadcnt 0x0
	global_store_b16 v[2:3], v1, off
.LBB14_1032:
	s_mov_b32 s12, 0
.LBB14_1033:
	s_delay_alu instid0(SALU_CYCLE_1)
	s_and_not1_b32 vcc_lo, exec_lo, s12
	s_cbranch_vccnz .LBB14_1038
; %bb.1034:
	s_sext_i32_i16 s12, s14
	s_delay_alu instid0(SALU_CYCLE_1)
	s_cmp_gt_i32 s12, 0
	s_mov_b32 s12, -1
	s_cbranch_scc0 .LBB14_1036
; %bb.1035:
	s_wait_xcnt 0x0
	v_cvt_i32_f32_e32 v1, v0
	s_mov_b32 s12, 0
	s_wait_loadcnt 0x0
	global_store_b8 v[2:3], v1, off
.LBB14_1036:
	s_and_not1_b32 vcc_lo, exec_lo, s12
	s_cbranch_vccnz .LBB14_1038
; %bb.1037:
	s_wait_xcnt 0x0
	v_trunc_f32_e32 v0, v0
	s_delay_alu instid0(VALU_DEP_1) | instskip(NEXT) | instid1(VALU_DEP_1)
	v_mul_f32_e64 v1, 0x2f800000, |v0|
	v_floor_f32_e32 v1, v1
	s_delay_alu instid0(VALU_DEP_1) | instskip(SKIP_1) | instid1(VALU_DEP_2)
	v_fma_f32 v1, 0xcf800000, v1, |v0|
	v_ashrrev_i32_e32 v0, 31, v0
	v_cvt_u32_f32_e32 v1, v1
	s_delay_alu instid0(VALU_DEP_1) | instskip(NEXT) | instid1(VALU_DEP_1)
	v_xor_b32_e32 v1, v1, v0
	v_sub_nc_u32_e32 v0, v1, v0
	s_wait_loadcnt 0x0
	global_store_b8 v[2:3], v0, off
.LBB14_1038:
	s_wait_xcnt 0x0
	s_or_b32 exec_lo, exec_lo, s0
	s_delay_alu instid0(SALU_CYCLE_1)
	s_and_b32 s12, s13, exec_lo
                                        ; implicit-def: $vgpr8
.LBB14_1039:
	s_or_saveexec_b32 s3, s3
	s_mov_b32 s0, 0
                                        ; implicit-def: $sgpr13
                                        ; implicit-def: $vgpr2_vgpr3
                                        ; implicit-def: $vgpr0
	s_xor_b32 exec_lo, exec_lo, s3
	s_cbranch_execz .LBB14_1644
; %bb.1040:
	v_mul_lo_u32 v0, s9, v8
	s_and_b32 s0, 0xffff, s2
	s_delay_alu instid0(SALU_CYCLE_1) | instskip(NEXT) | instid1(VALU_DEP_1)
	s_cmp_lt_i32 s0, 11
	v_ashrrev_i32_e32 v1, 31, v0
	s_wait_loadcnt 0x0
	s_delay_alu instid0(VALU_DEP_1)
	v_add_nc_u64_e32 v[2:3], s[6:7], v[0:1]
	s_cbranch_scc1 .LBB14_1047
; %bb.1041:
	s_cmp_gt_i32 s0, 25
	s_mov_b32 s2, 0
	s_cbranch_scc0 .LBB14_1049
; %bb.1042:
	s_cmp_gt_i32 s0, 28
	s_cbranch_scc0 .LBB14_1050
; %bb.1043:
	s_cmp_gt_i32 s0, 43
	;; [unrolled: 3-line block ×3, first 2 shown]
	s_cbranch_scc0 .LBB14_1052
; %bb.1045:
	s_cmp_eq_u32 s0, 46
	s_mov_b32 s14, 0
	s_cbranch_scc0 .LBB14_1055
; %bb.1046:
	global_load_b32 v1, v[2:3], off
	s_mov_b32 s13, -1
	s_wait_loadcnt 0x0
	v_lshlrev_b32_e32 v1, 16, v1
	s_branch .LBB14_1057
.LBB14_1047:
	s_mov_b32 s13, 0
	s_mov_b32 s1, s12
                                        ; implicit-def: $vgpr1
	s_cbranch_execnz .LBB14_1120
.LBB14_1048:
	s_and_not1_b32 vcc_lo, exec_lo, s13
	s_cbranch_vccz .LBB14_1165
	s_branch .LBB14_1642
.LBB14_1049:
	s_mov_b32 s13, 0
                                        ; implicit-def: $vgpr1
	s_cbranch_execnz .LBB14_1085
	s_branch .LBB14_1116
.LBB14_1050:
	s_mov_b32 s14, -1
	s_mov_b32 s13, 0
                                        ; implicit-def: $vgpr1
	s_branch .LBB14_1066
.LBB14_1051:
	s_mov_b32 s13, 0
                                        ; implicit-def: $vgpr1
	s_cbranch_execnz .LBB14_1062
	s_branch .LBB14_1065
.LBB14_1052:
	s_mov_b32 s14, -1
	s_branch .LBB14_1056
.LBB14_1053:
	s_and_not1_saveexec_b32 s19, s19
	s_cbranch_execz .LBB14_952
.LBB14_1054:
	v_add_f32_e64 v1, 0x46000000, |v0|
	s_and_not1_b32 s18, s18, exec_lo
	s_delay_alu instid0(VALU_DEP_1) | instskip(NEXT) | instid1(VALU_DEP_1)
	v_and_b32_e32 v1, 0xff, v1
	v_cmp_ne_u32_e32 vcc_lo, 0, v1
	s_and_b32 s20, vcc_lo, exec_lo
	s_delay_alu instid0(SALU_CYCLE_1)
	s_or_b32 s18, s18, s20
	s_or_b32 exec_lo, exec_lo, s19
	v_mov_b32_e32 v4, 0
	s_and_saveexec_b32 s19, s18
	s_cbranch_execnz .LBB14_953
	s_branch .LBB14_954
.LBB14_1055:
	s_mov_b32 s1, -1
.LBB14_1056:
	s_mov_b32 s13, 0
                                        ; implicit-def: $vgpr1
.LBB14_1057:
	s_and_b32 vcc_lo, exec_lo, s14
	s_cbranch_vccz .LBB14_1060
; %bb.1058:
	s_cmp_eq_u32 s0, 44
	s_cbranch_scc0 .LBB14_1061
; %bb.1059:
	global_load_u8 v1, v[2:3], off
	s_mov_b32 s1, 0
	s_mov_b32 s13, -1
	s_wait_loadcnt 0x0
	v_lshlrev_b32_e32 v4, 23, v1
	v_cmp_ne_u32_e32 vcc_lo, 0xff, v1
	s_delay_alu instid0(VALU_DEP_2) | instskip(SKIP_1) | instid1(VALU_DEP_2)
	v_cndmask_b32_e32 v4, 0x7f800001, v4, vcc_lo
	v_cmp_ne_u32_e32 vcc_lo, 0, v1
	v_cndmask_b32_e32 v1, 0x400000, v4, vcc_lo
.LBB14_1060:
	s_branch .LBB14_1065
.LBB14_1061:
	s_mov_b32 s1, -1
                                        ; implicit-def: $vgpr1
	s_branch .LBB14_1065
.LBB14_1062:
	s_cmp_eq_u32 s0, 29
	s_cbranch_scc0 .LBB14_1064
; %bb.1063:
	global_load_b64 v[4:5], v[2:3], off
	s_mov_b32 s1, 0
	s_mov_b32 s13, -1
	s_mov_b32 s14, 0
	s_wait_loadcnt 0x0
	v_clz_i32_u32_e32 v1, v5
	s_delay_alu instid0(VALU_DEP_1) | instskip(NEXT) | instid1(VALU_DEP_1)
	v_min_u32_e32 v1, 32, v1
	v_lshlrev_b64_e32 v[4:5], v1, v[4:5]
	v_sub_nc_u32_e32 v1, 32, v1
	s_delay_alu instid0(VALU_DEP_2) | instskip(NEXT) | instid1(VALU_DEP_1)
	v_min_u32_e32 v4, 1, v4
	v_or_b32_e32 v4, v5, v4
	s_delay_alu instid0(VALU_DEP_1) | instskip(NEXT) | instid1(VALU_DEP_1)
	v_cvt_f32_u32_e32 v4, v4
	v_ldexp_f32 v1, v4, v1
	s_branch .LBB14_1066
.LBB14_1064:
	s_mov_b32 s1, -1
                                        ; implicit-def: $vgpr1
.LBB14_1065:
	s_mov_b32 s14, 0
.LBB14_1066:
	s_delay_alu instid0(SALU_CYCLE_1)
	s_and_b32 vcc_lo, exec_lo, s14
	s_cbranch_vccz .LBB14_1084
; %bb.1067:
	s_cmp_lt_i32 s0, 27
	s_cbranch_scc1 .LBB14_1070
; %bb.1068:
	s_cmp_gt_i32 s0, 27
	s_cbranch_scc0 .LBB14_1071
; %bb.1069:
	global_load_b32 v1, v[2:3], off
	s_mov_b32 s13, 0
	s_wait_loadcnt 0x0
	v_cvt_f32_u32_e32 v1, v1
	s_branch .LBB14_1072
.LBB14_1070:
	s_mov_b32 s13, -1
                                        ; implicit-def: $vgpr1
	s_branch .LBB14_1075
.LBB14_1071:
	s_mov_b32 s13, -1
                                        ; implicit-def: $vgpr1
.LBB14_1072:
	s_delay_alu instid0(SALU_CYCLE_1)
	s_and_not1_b32 vcc_lo, exec_lo, s13
	s_cbranch_vccnz .LBB14_1074
; %bb.1073:
	global_load_u16 v1, v[2:3], off
	s_wait_loadcnt 0x0
	v_cvt_f32_u32_e32 v1, v1
.LBB14_1074:
	s_mov_b32 s13, 0
.LBB14_1075:
	s_delay_alu instid0(SALU_CYCLE_1)
	s_and_not1_b32 vcc_lo, exec_lo, s13
	s_cbranch_vccnz .LBB14_1083
; %bb.1076:
	global_load_u8 v4, v[2:3], off
	s_mov_b32 s13, 0
	s_mov_b32 s14, exec_lo
	s_wait_loadcnt 0x0
	v_cmpx_lt_i16_e32 0x7f, v4
	s_xor_b32 s14, exec_lo, s14
	s_cbranch_execz .LBB14_1096
; %bb.1077:
	s_mov_b32 s13, -1
	s_mov_b32 s15, exec_lo
	v_cmpx_eq_u16_e32 0x80, v4
; %bb.1078:
	s_xor_b32 s13, exec_lo, -1
; %bb.1079:
	s_or_b32 exec_lo, exec_lo, s15
	s_delay_alu instid0(SALU_CYCLE_1)
	s_and_b32 s13, s13, exec_lo
	s_or_saveexec_b32 s14, s14
	v_mov_b32_e32 v1, 0x7f800001
	s_xor_b32 exec_lo, exec_lo, s14
	s_cbranch_execnz .LBB14_1097
.LBB14_1080:
	s_or_b32 exec_lo, exec_lo, s14
	s_and_saveexec_b32 s14, s13
	s_cbranch_execz .LBB14_1082
.LBB14_1081:
	v_and_b32_e32 v1, 0xffff, v4
	s_delay_alu instid0(VALU_DEP_1) | instskip(SKIP_1) | instid1(VALU_DEP_2)
	v_and_b32_e32 v5, 7, v1
	v_bfe_u32 v9, v1, 3, 4
	v_clz_i32_u32_e32 v6, v5
	s_delay_alu instid0(VALU_DEP_2) | instskip(NEXT) | instid1(VALU_DEP_2)
	v_cmp_eq_u32_e32 vcc_lo, 0, v9
	v_min_u32_e32 v6, 32, v6
	s_delay_alu instid0(VALU_DEP_1) | instskip(NEXT) | instid1(VALU_DEP_1)
	v_subrev_nc_u32_e32 v7, 28, v6
	v_dual_lshlrev_b32 v1, v7, v1 :: v_dual_sub_nc_u32 v6, 29, v6
	s_delay_alu instid0(VALU_DEP_1) | instskip(NEXT) | instid1(VALU_DEP_2)
	v_dual_lshlrev_b32 v4, 24, v4 :: v_dual_bitop2_b32 v1, 7, v1 bitop3:0x40
	v_cndmask_b32_e32 v6, v9, v6, vcc_lo
	s_delay_alu instid0(VALU_DEP_2) | instskip(NEXT) | instid1(VALU_DEP_3)
	v_cndmask_b32_e32 v1, v5, v1, vcc_lo
	v_and_b32_e32 v4, 0x80000000, v4
	s_delay_alu instid0(VALU_DEP_3) | instskip(NEXT) | instid1(VALU_DEP_3)
	v_lshl_add_u32 v5, v6, 23, 0x3b800000
	v_lshlrev_b32_e32 v1, 20, v1
	s_delay_alu instid0(VALU_DEP_1)
	v_or3_b32 v1, v4, v5, v1
.LBB14_1082:
	s_or_b32 exec_lo, exec_lo, s14
.LBB14_1083:
	s_mov_b32 s13, -1
.LBB14_1084:
	s_branch .LBB14_1116
.LBB14_1085:
	s_cmp_gt_i32 s0, 22
	s_cbranch_scc0 .LBB14_1095
; %bb.1086:
	s_cmp_lt_i32 s0, 24
	s_cbranch_scc1 .LBB14_1098
; %bb.1087:
	s_cmp_gt_i32 s0, 24
	s_cbranch_scc0 .LBB14_1099
; %bb.1088:
	global_load_u8 v4, v[2:3], off
	s_mov_b32 s13, exec_lo
	s_wait_loadcnt 0x0
	v_cmpx_lt_i16_e32 0x7f, v4
	s_xor_b32 s13, exec_lo, s13
	s_cbranch_execz .LBB14_1110
; %bb.1089:
	s_mov_b32 s2, -1
	s_mov_b32 s14, exec_lo
	v_cmpx_eq_u16_e32 0x80, v4
; %bb.1090:
	s_xor_b32 s2, exec_lo, -1
; %bb.1091:
	s_or_b32 exec_lo, exec_lo, s14
	s_delay_alu instid0(SALU_CYCLE_1)
	s_and_b32 s2, s2, exec_lo
	s_or_saveexec_b32 s13, s13
	v_mov_b32_e32 v1, 0x7f800001
	s_xor_b32 exec_lo, exec_lo, s13
	s_cbranch_execnz .LBB14_1111
.LBB14_1092:
	s_or_b32 exec_lo, exec_lo, s13
	s_and_saveexec_b32 s13, s2
	s_cbranch_execz .LBB14_1094
.LBB14_1093:
	v_and_b32_e32 v1, 0xffff, v4
	s_delay_alu instid0(VALU_DEP_1) | instskip(SKIP_1) | instid1(VALU_DEP_2)
	v_and_b32_e32 v5, 3, v1
	v_bfe_u32 v9, v1, 2, 5
	v_clz_i32_u32_e32 v6, v5
	s_delay_alu instid0(VALU_DEP_2) | instskip(NEXT) | instid1(VALU_DEP_2)
	v_cmp_eq_u32_e32 vcc_lo, 0, v9
	v_min_u32_e32 v6, 32, v6
	s_delay_alu instid0(VALU_DEP_1) | instskip(NEXT) | instid1(VALU_DEP_1)
	v_subrev_nc_u32_e32 v7, 29, v6
	v_dual_lshlrev_b32 v1, v7, v1 :: v_dual_sub_nc_u32 v6, 30, v6
	s_delay_alu instid0(VALU_DEP_1) | instskip(NEXT) | instid1(VALU_DEP_2)
	v_dual_lshlrev_b32 v4, 24, v4 :: v_dual_bitop2_b32 v1, 3, v1 bitop3:0x40
	v_cndmask_b32_e32 v6, v9, v6, vcc_lo
	s_delay_alu instid0(VALU_DEP_2) | instskip(NEXT) | instid1(VALU_DEP_3)
	v_cndmask_b32_e32 v1, v5, v1, vcc_lo
	v_and_b32_e32 v4, 0x80000000, v4
	s_delay_alu instid0(VALU_DEP_3) | instskip(NEXT) | instid1(VALU_DEP_3)
	v_lshl_add_u32 v5, v6, 23, 0x37800000
	v_lshlrev_b32_e32 v1, 21, v1
	s_delay_alu instid0(VALU_DEP_1)
	v_or3_b32 v1, v4, v5, v1
.LBB14_1094:
	s_or_b32 exec_lo, exec_lo, s13
	s_mov_b32 s2, 0
	s_branch .LBB14_1100
.LBB14_1095:
                                        ; implicit-def: $vgpr1
	s_mov_b32 s2, 0
	s_branch .LBB14_1106
.LBB14_1096:
	s_or_saveexec_b32 s14, s14
	v_mov_b32_e32 v1, 0x7f800001
	s_xor_b32 exec_lo, exec_lo, s14
	s_cbranch_execz .LBB14_1080
.LBB14_1097:
	v_cmp_ne_u16_e32 vcc_lo, 0, v4
	v_mov_b32_e32 v1, 0
	s_and_not1_b32 s13, s13, exec_lo
	s_and_b32 s15, vcc_lo, exec_lo
	s_delay_alu instid0(SALU_CYCLE_1)
	s_or_b32 s13, s13, s15
	s_or_b32 exec_lo, exec_lo, s14
	s_and_saveexec_b32 s14, s13
	s_cbranch_execnz .LBB14_1081
	s_branch .LBB14_1082
.LBB14_1098:
	s_mov_b32 s2, -1
                                        ; implicit-def: $vgpr1
	s_branch .LBB14_1103
.LBB14_1099:
	s_mov_b32 s2, -1
                                        ; implicit-def: $vgpr1
.LBB14_1100:
	s_delay_alu instid0(SALU_CYCLE_1)
	s_and_b32 vcc_lo, exec_lo, s2
	s_cbranch_vccz .LBB14_1102
; %bb.1101:
	global_load_u8 v1, v[2:3], off
	s_wait_loadcnt 0x0
	v_lshlrev_b32_e32 v1, 24, v1
	s_delay_alu instid0(VALU_DEP_1) | instskip(NEXT) | instid1(VALU_DEP_1)
	v_and_b32_e32 v4, 0x7f000000, v1
	v_clz_i32_u32_e32 v5, v4
	v_cmp_ne_u32_e32 vcc_lo, 0, v4
	v_add_nc_u32_e32 v7, 0x1000000, v4
	s_delay_alu instid0(VALU_DEP_3) | instskip(NEXT) | instid1(VALU_DEP_1)
	v_min_u32_e32 v5, 32, v5
	v_sub_nc_u32_e64 v5, v5, 4 clamp
	s_delay_alu instid0(VALU_DEP_1) | instskip(NEXT) | instid1(VALU_DEP_1)
	v_dual_lshlrev_b32 v6, v5, v4 :: v_dual_lshlrev_b32 v5, 23, v5
	v_lshrrev_b32_e32 v6, 4, v6
	s_delay_alu instid0(VALU_DEP_1) | instskip(NEXT) | instid1(VALU_DEP_1)
	v_dual_sub_nc_u32 v5, v6, v5 :: v_dual_ashrrev_i32 v6, 8, v7
	v_add_nc_u32_e32 v5, 0x3c000000, v5
	s_delay_alu instid0(VALU_DEP_1) | instskip(NEXT) | instid1(VALU_DEP_1)
	v_and_or_b32 v5, 0x7f800000, v6, v5
	v_cndmask_b32_e32 v4, 0, v5, vcc_lo
	s_delay_alu instid0(VALU_DEP_1)
	v_and_or_b32 v1, 0x80000000, v1, v4
.LBB14_1102:
	s_mov_b32 s2, 0
.LBB14_1103:
	s_delay_alu instid0(SALU_CYCLE_1)
	s_and_not1_b32 vcc_lo, exec_lo, s2
	s_cbranch_vccnz .LBB14_1105
; %bb.1104:
	global_load_u8 v1, v[2:3], off
	s_wait_loadcnt 0x0
	v_lshlrev_b32_e32 v4, 25, v1
	v_lshlrev_b16 v1, 8, v1
	s_delay_alu instid0(VALU_DEP_1) | instskip(SKIP_1) | instid1(VALU_DEP_2)
	v_and_or_b32 v6, 0x7f00, v1, 0.5
	v_bfe_i32 v1, v1, 0, 16
	v_dual_add_f32 v6, -0.5, v6 :: v_dual_lshrrev_b32 v5, 4, v4
	v_cmp_gt_u32_e32 vcc_lo, 0x8000000, v4
	s_delay_alu instid0(VALU_DEP_2) | instskip(NEXT) | instid1(VALU_DEP_1)
	v_or_b32_e32 v5, 0x70000000, v5
	v_mul_f32_e32 v5, 0x7800000, v5
	s_delay_alu instid0(VALU_DEP_1) | instskip(NEXT) | instid1(VALU_DEP_1)
	v_cndmask_b32_e32 v4, v5, v6, vcc_lo
	v_and_or_b32 v1, 0x80000000, v1, v4
.LBB14_1105:
	s_mov_b32 s13, -1
	s_mov_b32 s2, 0
	s_cbranch_execnz .LBB14_1116
.LBB14_1106:
	s_cmp_gt_i32 s0, 14
	s_cbranch_scc0 .LBB14_1109
; %bb.1107:
	s_cmp_eq_u32 s0, 15
	s_cbranch_scc0 .LBB14_1112
; %bb.1108:
	global_load_u16 v1, v[2:3], off
	s_mov_b32 s1, 0
	s_mov_b32 s13, -1
	s_wait_loadcnt 0x0
	v_lshlrev_b32_e32 v1, 16, v1
	s_branch .LBB14_1114
.LBB14_1109:
	s_mov_b32 s2, -1
	s_branch .LBB14_1113
.LBB14_1110:
	s_or_saveexec_b32 s13, s13
	v_mov_b32_e32 v1, 0x7f800001
	s_xor_b32 exec_lo, exec_lo, s13
	s_cbranch_execz .LBB14_1092
.LBB14_1111:
	v_cmp_ne_u16_e32 vcc_lo, 0, v4
	v_mov_b32_e32 v1, 0
	s_and_not1_b32 s2, s2, exec_lo
	s_and_b32 s14, vcc_lo, exec_lo
	s_delay_alu instid0(SALU_CYCLE_1)
	s_or_b32 s2, s2, s14
	s_or_b32 exec_lo, exec_lo, s13
	s_and_saveexec_b32 s13, s2
	s_cbranch_execnz .LBB14_1093
	s_branch .LBB14_1094
.LBB14_1112:
	s_mov_b32 s1, -1
.LBB14_1113:
                                        ; implicit-def: $vgpr1
.LBB14_1114:
	s_and_b32 vcc_lo, exec_lo, s2
	s_mov_b32 s2, 0
	s_cbranch_vccz .LBB14_1116
; %bb.1115:
	s_cmp_lg_u32 s0, 11
	s_mov_b32 s2, -1
	s_cselect_b32 s1, -1, 0
.LBB14_1116:
	s_delay_alu instid0(SALU_CYCLE_1)
	s_and_b32 vcc_lo, exec_lo, s1
	s_mov_b32 s1, s12
	s_cbranch_vccnz .LBB14_1179
; %bb.1117:
	s_and_not1_b32 vcc_lo, exec_lo, s2
	s_cbranch_vccnz .LBB14_1119
.LBB14_1118:
	global_load_u8 v1, v[2:3], off
	s_mov_b32 s13, -1
	s_wait_loadcnt 0x0
	v_cmp_ne_u16_e32 vcc_lo, 0, v1
	v_cndmask_b32_e64 v1, 0, 1.0, vcc_lo
.LBB14_1119:
	s_branch .LBB14_1048
.LBB14_1120:
	s_cmp_lt_i32 s0, 5
	s_cbranch_scc1 .LBB14_1125
; %bb.1121:
	s_cmp_lt_i32 s0, 8
	s_cbranch_scc1 .LBB14_1126
; %bb.1122:
	s_cmp_lt_i32 s0, 9
	s_cbranch_scc1 .LBB14_1127
; %bb.1123:
	s_cmp_gt_i32 s0, 9
	s_cbranch_scc0 .LBB14_1128
; %bb.1124:
	global_load_b64 v[4:5], v[2:3], off
	s_mov_b32 s2, 0
	s_wait_loadcnt 0x0
	v_cvt_f32_f64_e32 v1, v[4:5]
	s_branch .LBB14_1129
.LBB14_1125:
                                        ; implicit-def: $vgpr1
	s_branch .LBB14_1146
.LBB14_1126:
                                        ; implicit-def: $vgpr1
	s_branch .LBB14_1135
.LBB14_1127:
	s_mov_b32 s2, -1
                                        ; implicit-def: $vgpr1
	s_branch .LBB14_1132
.LBB14_1128:
	s_mov_b32 s2, -1
                                        ; implicit-def: $vgpr1
.LBB14_1129:
	s_delay_alu instid0(SALU_CYCLE_1)
	s_and_not1_b32 vcc_lo, exec_lo, s2
	s_cbranch_vccnz .LBB14_1131
; %bb.1130:
	global_load_b32 v1, v[2:3], off
.LBB14_1131:
	s_mov_b32 s2, 0
.LBB14_1132:
	s_delay_alu instid0(SALU_CYCLE_1)
	s_and_not1_b32 vcc_lo, exec_lo, s2
	s_cbranch_vccnz .LBB14_1134
; %bb.1133:
	s_wait_loadcnt 0x0
	global_load_b32 v1, v[2:3], off
	s_wait_loadcnt 0x0
	v_cvt_f32_f16_e32 v1, v1
.LBB14_1134:
	s_cbranch_execnz .LBB14_1145
.LBB14_1135:
	s_cmp_lt_i32 s0, 6
	s_cbranch_scc1 .LBB14_1138
; %bb.1136:
	s_cmp_gt_i32 s0, 6
	s_cbranch_scc0 .LBB14_1139
; %bb.1137:
	global_load_b64 v[4:5], v[2:3], off
	s_mov_b32 s2, 0
	s_wait_loadcnt 0x0
	v_cvt_f32_f64_e32 v1, v[4:5]
	s_branch .LBB14_1140
.LBB14_1138:
	s_mov_b32 s2, -1
                                        ; implicit-def: $vgpr1
	s_branch .LBB14_1143
.LBB14_1139:
	s_mov_b32 s2, -1
                                        ; implicit-def: $vgpr1
.LBB14_1140:
	s_delay_alu instid0(SALU_CYCLE_1)
	s_and_not1_b32 vcc_lo, exec_lo, s2
	s_cbranch_vccnz .LBB14_1142
; %bb.1141:
	s_wait_loadcnt 0x0
	global_load_b32 v1, v[2:3], off
.LBB14_1142:
	s_mov_b32 s2, 0
.LBB14_1143:
	s_delay_alu instid0(SALU_CYCLE_1)
	s_and_not1_b32 vcc_lo, exec_lo, s2
	s_cbranch_vccnz .LBB14_1145
; %bb.1144:
	s_wait_loadcnt 0x0
	global_load_u16 v1, v[2:3], off
	s_wait_loadcnt 0x0
	v_cvt_f32_f16_e32 v1, v1
.LBB14_1145:
	s_cbranch_execnz .LBB14_1164
.LBB14_1146:
	s_cmp_lt_i32 s0, 2
	s_cbranch_scc1 .LBB14_1150
; %bb.1147:
	s_cmp_lt_i32 s0, 3
	s_cbranch_scc1 .LBB14_1151
; %bb.1148:
	s_cmp_gt_i32 s0, 3
	s_cbranch_scc0 .LBB14_1152
; %bb.1149:
	global_load_b64 v[4:5], v[2:3], off
	s_mov_b32 s2, 0
	s_wait_loadcnt 0x0
	v_xor_b32_e32 v1, v4, v5
	v_cls_i32_e32 v6, v5
	s_delay_alu instid0(VALU_DEP_2) | instskip(NEXT) | instid1(VALU_DEP_1)
	v_ashrrev_i32_e32 v1, 31, v1
	v_add_nc_u32_e32 v1, 32, v1
	s_delay_alu instid0(VALU_DEP_1) | instskip(NEXT) | instid1(VALU_DEP_1)
	v_add_min_u32_e64 v1, v6, -1, v1
	v_lshlrev_b64_e32 v[4:5], v1, v[4:5]
	v_sub_nc_u32_e32 v1, 32, v1
	s_delay_alu instid0(VALU_DEP_2) | instskip(NEXT) | instid1(VALU_DEP_1)
	v_min_u32_e32 v4, 1, v4
	v_or_b32_e32 v4, v5, v4
	s_delay_alu instid0(VALU_DEP_1) | instskip(NEXT) | instid1(VALU_DEP_1)
	v_cvt_f32_i32_e32 v4, v4
	v_ldexp_f32 v1, v4, v1
	s_branch .LBB14_1153
.LBB14_1150:
                                        ; implicit-def: $vgpr1
	s_branch .LBB14_1159
.LBB14_1151:
	s_mov_b32 s2, -1
                                        ; implicit-def: $vgpr1
	s_branch .LBB14_1156
.LBB14_1152:
	s_mov_b32 s2, -1
                                        ; implicit-def: $vgpr1
.LBB14_1153:
	s_delay_alu instid0(SALU_CYCLE_1)
	s_and_not1_b32 vcc_lo, exec_lo, s2
	s_cbranch_vccnz .LBB14_1155
; %bb.1154:
	s_wait_loadcnt 0x0
	global_load_b32 v1, v[2:3], off
	s_wait_loadcnt 0x0
	v_cvt_f32_i32_e32 v1, v1
.LBB14_1155:
	s_mov_b32 s2, 0
.LBB14_1156:
	s_delay_alu instid0(SALU_CYCLE_1)
	s_and_not1_b32 vcc_lo, exec_lo, s2
	s_cbranch_vccnz .LBB14_1158
; %bb.1157:
	s_wait_loadcnt 0x0
	global_load_i16 v1, v[2:3], off
	s_wait_loadcnt 0x0
	v_cvt_f32_i32_e32 v1, v1
.LBB14_1158:
	s_cbranch_execnz .LBB14_1164
.LBB14_1159:
	s_cmp_gt_i32 s0, 0
	s_mov_b32 s2, 0
	s_cbranch_scc0 .LBB14_1161
; %bb.1160:
	s_wait_loadcnt 0x0
	global_load_i8 v1, v[2:3], off
	s_wait_loadcnt 0x0
	v_cvt_f32_i32_e32 v1, v1
	s_branch .LBB14_1162
.LBB14_1161:
	s_mov_b32 s2, -1
                                        ; implicit-def: $vgpr1
.LBB14_1162:
	s_delay_alu instid0(SALU_CYCLE_1)
	s_and_not1_b32 vcc_lo, exec_lo, s2
	s_cbranch_vccnz .LBB14_1164
; %bb.1163:
	s_wait_loadcnt 0x0
	global_load_u8 v1, v[2:3], off
	s_wait_loadcnt 0x0
	v_cvt_f32_ubyte0_e32 v1, v1
.LBB14_1164:
.LBB14_1165:
	s_wait_xcnt 0x0
	v_mov_b32_e32 v2, 1.0
	s_mov_b32 s2, exec_lo
	s_wait_loadcnt 0x0
	s_delay_alu instid0(VALU_DEP_2)
	v_cmpx_lt_f32_e32 s10, v1
	s_cbranch_execz .LBB14_1167
; %bb.1166:
	v_add_f32_e32 v1, 0x33d6bf95, v1
	s_delay_alu instid0(VALU_DEP_1) | instskip(NEXT) | instid1(VALU_DEP_1)
	v_div_scale_f32 v2, null, v1, v1, s10
	v_rcp_f32_e32 v3, v2
	v_nop
	s_delay_alu instid0(TRANS32_DEP_1) | instskip(NEXT) | instid1(VALU_DEP_1)
	v_fma_f32 v4, -v2, v3, 1.0
	v_fmac_f32_e32 v3, v4, v3
	v_div_scale_f32 v4, vcc_lo, s10, v1, s10
	s_delay_alu instid0(VALU_DEP_1) | instskip(NEXT) | instid1(VALU_DEP_1)
	v_mul_f32_e32 v5, v4, v3
	v_fma_f32 v6, -v2, v5, v4
	s_delay_alu instid0(VALU_DEP_1) | instskip(NEXT) | instid1(VALU_DEP_1)
	v_fmac_f32_e32 v5, v6, v3
	v_fma_f32 v2, -v2, v5, v4
	s_delay_alu instid0(VALU_DEP_1) | instskip(NEXT) | instid1(VALU_DEP_1)
	v_div_fmas_f32 v2, v2, v3, v5
	v_div_fixup_f32 v2, v2, v1, s10
.LBB14_1167:
	s_or_b32 exec_lo, exec_lo, s2
	s_lshl_b32 s2, s9, 7
	s_cmp_lt_i32 s0, 11
	v_add_nc_u32_e32 v0, s2, v0
	s_delay_alu instid0(VALU_DEP_1) | instskip(NEXT) | instid1(VALU_DEP_1)
	v_ashrrev_i32_e32 v1, 31, v0
	v_add_nc_u64_e32 v[4:5], s[6:7], v[0:1]
	s_cbranch_scc1 .LBB14_1174
; %bb.1168:
	s_cmp_gt_i32 s0, 25
	s_mov_b32 s13, 0
	s_cbranch_scc0 .LBB14_1176
; %bb.1169:
	s_cmp_gt_i32 s0, 28
	s_cbranch_scc0 .LBB14_1177
; %bb.1170:
	s_cmp_gt_i32 s0, 43
	;; [unrolled: 3-line block ×3, first 2 shown]
	s_cbranch_scc0 .LBB14_1180
; %bb.1172:
	s_cmp_eq_u32 s0, 46
	s_mov_b32 s15, 0
	s_cbranch_scc0 .LBB14_1183
; %bb.1173:
	global_load_b32 v1, v[4:5], off
	s_mov_b32 s9, 0
	s_mov_b32 s14, -1
	s_wait_loadcnt 0x0
	v_lshlrev_b32_e32 v1, 16, v1
	s_branch .LBB14_1185
.LBB14_1174:
	s_mov_b32 s14, 0
                                        ; implicit-def: $vgpr1
	s_cbranch_execnz .LBB14_1250
.LBB14_1175:
	s_and_not1_b32 vcc_lo, exec_lo, s14
	s_cbranch_vccnz .LBB14_1642
	s_branch .LBB14_1297
.LBB14_1176:
	s_mov_b32 s14, 0
	s_mov_b32 s9, 0
                                        ; implicit-def: $vgpr1
	s_cbranch_execnz .LBB14_1214
	s_branch .LBB14_1246
.LBB14_1177:
	s_mov_b32 s15, -1
	s_mov_b32 s14, 0
	s_mov_b32 s9, 0
                                        ; implicit-def: $vgpr1
	s_branch .LBB14_1195
.LBB14_1178:
	s_mov_b32 s15, -1
	s_mov_b32 s14, 0
	s_mov_b32 s9, 0
                                        ; implicit-def: $vgpr1
	s_branch .LBB14_1190
.LBB14_1179:
	s_or_b32 s1, s12, exec_lo
	s_trap 2
	s_cbranch_execz .LBB14_1118
	s_branch .LBB14_1119
.LBB14_1180:
	s_mov_b32 s15, -1
	s_mov_b32 s14, 0
	s_mov_b32 s9, 0
	s_branch .LBB14_1184
.LBB14_1181:
	s_and_not1_saveexec_b32 s20, s20
	s_cbranch_execz .LBB14_964
.LBB14_1182:
	v_add_f32_e64 v1, 0x42800000, |v0|
	s_and_not1_b32 s19, s19, exec_lo
	s_delay_alu instid0(VALU_DEP_1) | instskip(NEXT) | instid1(VALU_DEP_1)
	v_and_b32_e32 v1, 0xff, v1
	v_cmp_ne_u32_e32 vcc_lo, 0, v1
	s_and_b32 s21, vcc_lo, exec_lo
	s_delay_alu instid0(SALU_CYCLE_1)
	s_or_b32 s19, s19, s21
	s_or_b32 exec_lo, exec_lo, s20
	v_mov_b32_e32 v4, 0
	s_and_saveexec_b32 s20, s19
	s_cbranch_execnz .LBB14_965
	s_branch .LBB14_966
.LBB14_1183:
	s_mov_b32 s9, -1
	s_mov_b32 s14, 0
.LBB14_1184:
                                        ; implicit-def: $vgpr1
.LBB14_1185:
	s_and_b32 vcc_lo, exec_lo, s15
	s_cbranch_vccz .LBB14_1189
; %bb.1186:
	s_cmp_eq_u32 s0, 44
	s_cbranch_scc0 .LBB14_1188
; %bb.1187:
	global_load_u8 v1, v[4:5], off
	s_mov_b32 s9, 0
	s_mov_b32 s14, -1
	s_wait_loadcnt 0x0
	v_lshlrev_b32_e32 v3, 23, v1
	v_cmp_ne_u32_e32 vcc_lo, 0xff, v1
	s_delay_alu instid0(VALU_DEP_2) | instskip(SKIP_1) | instid1(VALU_DEP_2)
	v_cndmask_b32_e32 v3, 0x7f800001, v3, vcc_lo
	v_cmp_ne_u32_e32 vcc_lo, 0, v1
	v_cndmask_b32_e32 v1, 0x400000, v3, vcc_lo
	s_branch .LBB14_1189
.LBB14_1188:
	s_mov_b32 s9, -1
                                        ; implicit-def: $vgpr1
.LBB14_1189:
	s_mov_b32 s15, 0
.LBB14_1190:
	s_delay_alu instid0(SALU_CYCLE_1)
	s_and_b32 vcc_lo, exec_lo, s15
	s_cbranch_vccz .LBB14_1194
; %bb.1191:
	s_cmp_eq_u32 s0, 29
	s_cbranch_scc0 .LBB14_1193
; %bb.1192:
	global_load_b64 v[6:7], v[4:5], off
	s_mov_b32 s9, 0
	s_mov_b32 s14, -1
	s_mov_b32 s15, 0
	s_wait_loadcnt 0x0
	v_clz_i32_u32_e32 v1, v7
	s_delay_alu instid0(VALU_DEP_1) | instskip(NEXT) | instid1(VALU_DEP_1)
	v_min_u32_e32 v1, 32, v1
	v_lshlrev_b64_e32 v[6:7], v1, v[6:7]
	v_sub_nc_u32_e32 v1, 32, v1
	s_delay_alu instid0(VALU_DEP_2) | instskip(NEXT) | instid1(VALU_DEP_1)
	v_min_u32_e32 v3, 1, v6
	v_or_b32_e32 v3, v7, v3
	s_delay_alu instid0(VALU_DEP_1) | instskip(NEXT) | instid1(VALU_DEP_1)
	v_cvt_f32_u32_e32 v3, v3
	v_ldexp_f32 v1, v3, v1
	s_branch .LBB14_1195
.LBB14_1193:
	s_mov_b32 s9, -1
                                        ; implicit-def: $vgpr1
.LBB14_1194:
	s_mov_b32 s15, 0
.LBB14_1195:
	s_delay_alu instid0(SALU_CYCLE_1)
	s_and_b32 vcc_lo, exec_lo, s15
	s_cbranch_vccz .LBB14_1213
; %bb.1196:
	s_cmp_lt_i32 s0, 27
	s_cbranch_scc1 .LBB14_1199
; %bb.1197:
	s_cmp_gt_i32 s0, 27
	s_cbranch_scc0 .LBB14_1200
; %bb.1198:
	global_load_b32 v1, v[4:5], off
	s_mov_b32 s14, 0
	s_wait_loadcnt 0x0
	v_cvt_f32_u32_e32 v1, v1
	s_branch .LBB14_1201
.LBB14_1199:
	s_mov_b32 s14, -1
                                        ; implicit-def: $vgpr1
	s_branch .LBB14_1204
.LBB14_1200:
	s_mov_b32 s14, -1
                                        ; implicit-def: $vgpr1
.LBB14_1201:
	s_delay_alu instid0(SALU_CYCLE_1)
	s_and_not1_b32 vcc_lo, exec_lo, s14
	s_cbranch_vccnz .LBB14_1203
; %bb.1202:
	global_load_u16 v1, v[4:5], off
	s_wait_loadcnt 0x0
	v_cvt_f32_u32_e32 v1, v1
.LBB14_1203:
	s_mov_b32 s14, 0
.LBB14_1204:
	s_delay_alu instid0(SALU_CYCLE_1)
	s_and_not1_b32 vcc_lo, exec_lo, s14
	s_cbranch_vccnz .LBB14_1212
; %bb.1205:
	global_load_u8 v3, v[4:5], off
	s_mov_b32 s14, 0
	s_mov_b32 s15, exec_lo
	s_wait_loadcnt 0x0
	v_cmpx_lt_i16_e32 0x7f, v3
	s_xor_b32 s15, exec_lo, s15
	s_cbranch_execz .LBB14_1225
; %bb.1206:
	s_mov_b32 s14, -1
	s_mov_b32 s16, exec_lo
	v_cmpx_eq_u16_e32 0x80, v3
; %bb.1207:
	s_xor_b32 s14, exec_lo, -1
; %bb.1208:
	s_or_b32 exec_lo, exec_lo, s16
	s_delay_alu instid0(SALU_CYCLE_1)
	s_and_b32 s14, s14, exec_lo
	s_or_saveexec_b32 s15, s15
	v_mov_b32_e32 v1, 0x7f800001
	s_xor_b32 exec_lo, exec_lo, s15
	s_cbranch_execnz .LBB14_1226
.LBB14_1209:
	s_or_b32 exec_lo, exec_lo, s15
	s_and_saveexec_b32 s15, s14
	s_cbranch_execz .LBB14_1211
.LBB14_1210:
	v_and_b32_e32 v1, 0xffff, v3
	s_delay_alu instid0(VALU_DEP_1) | instskip(SKIP_1) | instid1(VALU_DEP_2)
	v_and_b32_e32 v6, 7, v1
	v_bfe_u32 v10, v1, 3, 4
	v_clz_i32_u32_e32 v7, v6
	s_delay_alu instid0(VALU_DEP_2) | instskip(NEXT) | instid1(VALU_DEP_2)
	v_cmp_eq_u32_e32 vcc_lo, 0, v10
	v_min_u32_e32 v7, 32, v7
	s_delay_alu instid0(VALU_DEP_1) | instskip(NEXT) | instid1(VALU_DEP_1)
	v_subrev_nc_u32_e32 v9, 28, v7
	v_dual_lshlrev_b32 v1, v9, v1 :: v_dual_sub_nc_u32 v7, 29, v7
	s_delay_alu instid0(VALU_DEP_1) | instskip(NEXT) | instid1(VALU_DEP_1)
	v_dual_lshlrev_b32 v3, 24, v3 :: v_dual_bitop2_b32 v1, 7, v1 bitop3:0x40
	v_cndmask_b32_e32 v1, v6, v1, vcc_lo
	s_delay_alu instid0(VALU_DEP_3) | instskip(NEXT) | instid1(VALU_DEP_3)
	v_cndmask_b32_e32 v7, v10, v7, vcc_lo
	v_and_b32_e32 v3, 0x80000000, v3
	s_delay_alu instid0(VALU_DEP_3) | instskip(NEXT) | instid1(VALU_DEP_3)
	v_lshlrev_b32_e32 v1, 20, v1
	v_lshl_add_u32 v6, v7, 23, 0x3b800000
	s_delay_alu instid0(VALU_DEP_1)
	v_or3_b32 v1, v3, v6, v1
.LBB14_1211:
	s_or_b32 exec_lo, exec_lo, s15
.LBB14_1212:
	s_mov_b32 s14, -1
.LBB14_1213:
	s_branch .LBB14_1246
.LBB14_1214:
	s_cmp_gt_i32 s0, 22
	s_cbranch_scc0 .LBB14_1224
; %bb.1215:
	s_cmp_lt_i32 s0, 24
	s_cbranch_scc1 .LBB14_1227
; %bb.1216:
	s_cmp_gt_i32 s0, 24
	s_cbranch_scc0 .LBB14_1228
; %bb.1217:
	global_load_u8 v3, v[4:5], off
	s_mov_b32 s14, exec_lo
	s_wait_loadcnt 0x0
	v_cmpx_lt_i16_e32 0x7f, v3
	s_xor_b32 s14, exec_lo, s14
	s_cbranch_execz .LBB14_1240
; %bb.1218:
	s_mov_b32 s13, -1
	s_mov_b32 s15, exec_lo
	v_cmpx_eq_u16_e32 0x80, v3
; %bb.1219:
	s_xor_b32 s13, exec_lo, -1
; %bb.1220:
	s_or_b32 exec_lo, exec_lo, s15
	s_delay_alu instid0(SALU_CYCLE_1)
	s_and_b32 s13, s13, exec_lo
	s_or_saveexec_b32 s14, s14
	v_mov_b32_e32 v1, 0x7f800001
	s_xor_b32 exec_lo, exec_lo, s14
	s_cbranch_execnz .LBB14_1241
.LBB14_1221:
	s_or_b32 exec_lo, exec_lo, s14
	s_and_saveexec_b32 s14, s13
	s_cbranch_execz .LBB14_1223
.LBB14_1222:
	v_and_b32_e32 v1, 0xffff, v3
	s_delay_alu instid0(VALU_DEP_1) | instskip(SKIP_1) | instid1(VALU_DEP_2)
	v_and_b32_e32 v6, 3, v1
	v_bfe_u32 v10, v1, 2, 5
	v_clz_i32_u32_e32 v7, v6
	s_delay_alu instid0(VALU_DEP_2) | instskip(NEXT) | instid1(VALU_DEP_2)
	v_cmp_eq_u32_e32 vcc_lo, 0, v10
	v_min_u32_e32 v7, 32, v7
	s_delay_alu instid0(VALU_DEP_1) | instskip(NEXT) | instid1(VALU_DEP_1)
	v_subrev_nc_u32_e32 v9, 29, v7
	v_dual_lshlrev_b32 v1, v9, v1 :: v_dual_sub_nc_u32 v7, 30, v7
	s_delay_alu instid0(VALU_DEP_1) | instskip(NEXT) | instid1(VALU_DEP_1)
	v_dual_lshlrev_b32 v3, 24, v3 :: v_dual_bitop2_b32 v1, 3, v1 bitop3:0x40
	v_cndmask_b32_e32 v1, v6, v1, vcc_lo
	s_delay_alu instid0(VALU_DEP_3) | instskip(NEXT) | instid1(VALU_DEP_3)
	v_cndmask_b32_e32 v7, v10, v7, vcc_lo
	v_and_b32_e32 v3, 0x80000000, v3
	s_delay_alu instid0(VALU_DEP_3) | instskip(NEXT) | instid1(VALU_DEP_3)
	v_lshlrev_b32_e32 v1, 21, v1
	v_lshl_add_u32 v6, v7, 23, 0x37800000
	s_delay_alu instid0(VALU_DEP_1)
	v_or3_b32 v1, v3, v6, v1
.LBB14_1223:
	s_or_b32 exec_lo, exec_lo, s14
	s_mov_b32 s13, 0
	s_branch .LBB14_1229
.LBB14_1224:
	s_mov_b32 s13, -1
                                        ; implicit-def: $vgpr1
	s_branch .LBB14_1235
.LBB14_1225:
	s_or_saveexec_b32 s15, s15
	v_mov_b32_e32 v1, 0x7f800001
	s_xor_b32 exec_lo, exec_lo, s15
	s_cbranch_execz .LBB14_1209
.LBB14_1226:
	v_cmp_ne_u16_e32 vcc_lo, 0, v3
	v_mov_b32_e32 v1, 0
	s_and_not1_b32 s14, s14, exec_lo
	s_and_b32 s16, vcc_lo, exec_lo
	s_delay_alu instid0(SALU_CYCLE_1)
	s_or_b32 s14, s14, s16
	s_or_b32 exec_lo, exec_lo, s15
	s_and_saveexec_b32 s15, s14
	s_cbranch_execnz .LBB14_1210
	s_branch .LBB14_1211
.LBB14_1227:
	s_mov_b32 s13, -1
                                        ; implicit-def: $vgpr1
	s_branch .LBB14_1232
.LBB14_1228:
	s_mov_b32 s13, -1
                                        ; implicit-def: $vgpr1
.LBB14_1229:
	s_delay_alu instid0(SALU_CYCLE_1)
	s_and_b32 vcc_lo, exec_lo, s13
	s_cbranch_vccz .LBB14_1231
; %bb.1230:
	global_load_u8 v1, v[4:5], off
	s_wait_loadcnt 0x0
	v_lshlrev_b32_e32 v1, 24, v1
	s_delay_alu instid0(VALU_DEP_1) | instskip(NEXT) | instid1(VALU_DEP_1)
	v_and_b32_e32 v3, 0x7f000000, v1
	v_clz_i32_u32_e32 v6, v3
	v_add_nc_u32_e32 v9, 0x1000000, v3
	v_cmp_ne_u32_e32 vcc_lo, 0, v3
	s_delay_alu instid0(VALU_DEP_3) | instskip(NEXT) | instid1(VALU_DEP_1)
	v_min_u32_e32 v6, 32, v6
	v_sub_nc_u32_e64 v6, v6, 4 clamp
	s_delay_alu instid0(VALU_DEP_1) | instskip(NEXT) | instid1(VALU_DEP_1)
	v_dual_lshlrev_b32 v7, v6, v3 :: v_dual_lshlrev_b32 v6, 23, v6
	v_lshrrev_b32_e32 v7, 4, v7
	s_delay_alu instid0(VALU_DEP_1) | instskip(NEXT) | instid1(VALU_DEP_1)
	v_dual_sub_nc_u32 v6, v7, v6 :: v_dual_ashrrev_i32 v7, 8, v9
	v_add_nc_u32_e32 v6, 0x3c000000, v6
	s_delay_alu instid0(VALU_DEP_1) | instskip(NEXT) | instid1(VALU_DEP_1)
	v_and_or_b32 v6, 0x7f800000, v7, v6
	v_cndmask_b32_e32 v3, 0, v6, vcc_lo
	s_delay_alu instid0(VALU_DEP_1)
	v_and_or_b32 v1, 0x80000000, v1, v3
.LBB14_1231:
	s_mov_b32 s13, 0
.LBB14_1232:
	s_delay_alu instid0(SALU_CYCLE_1)
	s_and_not1_b32 vcc_lo, exec_lo, s13
	s_cbranch_vccnz .LBB14_1234
; %bb.1233:
	global_load_u8 v1, v[4:5], off
	s_wait_loadcnt 0x0
	v_lshlrev_b32_e32 v3, 25, v1
	v_lshlrev_b16 v1, 8, v1
	s_delay_alu instid0(VALU_DEP_1) | instskip(SKIP_1) | instid1(VALU_DEP_2)
	v_and_or_b32 v7, 0x7f00, v1, 0.5
	v_bfe_i32 v1, v1, 0, 16
	v_add_f32_e32 v7, -0.5, v7
	v_lshrrev_b32_e32 v6, 4, v3
	v_cmp_gt_u32_e32 vcc_lo, 0x8000000, v3
	s_delay_alu instid0(VALU_DEP_2) | instskip(NEXT) | instid1(VALU_DEP_1)
	v_or_b32_e32 v6, 0x70000000, v6
	v_mul_f32_e32 v6, 0x7800000, v6
	s_delay_alu instid0(VALU_DEP_1) | instskip(NEXT) | instid1(VALU_DEP_1)
	v_cndmask_b32_e32 v3, v6, v7, vcc_lo
	v_and_or_b32 v1, 0x80000000, v1, v3
.LBB14_1234:
	s_mov_b32 s13, 0
	s_mov_b32 s14, -1
.LBB14_1235:
	s_and_not1_b32 vcc_lo, exec_lo, s13
	s_mov_b32 s13, 0
	s_cbranch_vccnz .LBB14_1246
; %bb.1236:
	s_cmp_gt_i32 s0, 14
	s_cbranch_scc0 .LBB14_1239
; %bb.1237:
	s_cmp_eq_u32 s0, 15
	s_cbranch_scc0 .LBB14_1242
; %bb.1238:
	global_load_u16 v1, v[4:5], off
	s_mov_b32 s9, 0
	s_mov_b32 s14, -1
	s_wait_loadcnt 0x0
	v_lshlrev_b32_e32 v1, 16, v1
	s_branch .LBB14_1244
.LBB14_1239:
	s_mov_b32 s13, -1
	s_branch .LBB14_1243
.LBB14_1240:
	s_or_saveexec_b32 s14, s14
	v_mov_b32_e32 v1, 0x7f800001
	s_xor_b32 exec_lo, exec_lo, s14
	s_cbranch_execz .LBB14_1221
.LBB14_1241:
	v_cmp_ne_u16_e32 vcc_lo, 0, v3
	v_mov_b32_e32 v1, 0
	s_and_not1_b32 s13, s13, exec_lo
	s_and_b32 s15, vcc_lo, exec_lo
	s_delay_alu instid0(SALU_CYCLE_1)
	s_or_b32 s13, s13, s15
	s_or_b32 exec_lo, exec_lo, s14
	s_and_saveexec_b32 s14, s13
	s_cbranch_execnz .LBB14_1222
	s_branch .LBB14_1223
.LBB14_1242:
	s_mov_b32 s9, -1
.LBB14_1243:
                                        ; implicit-def: $vgpr1
.LBB14_1244:
	s_and_b32 vcc_lo, exec_lo, s13
	s_mov_b32 s13, 0
	s_cbranch_vccz .LBB14_1246
; %bb.1245:
	s_cmp_lg_u32 s0, 11
	s_mov_b32 s13, -1
	s_cselect_b32 s9, -1, 0
.LBB14_1246:
	s_delay_alu instid0(SALU_CYCLE_1)
	s_and_b32 vcc_lo, exec_lo, s9
	s_cbranch_vccnz .LBB14_1311
; %bb.1247:
	s_and_not1_b32 vcc_lo, exec_lo, s13
	s_cbranch_vccnz .LBB14_1249
.LBB14_1248:
	global_load_u8 v1, v[4:5], off
	s_mov_b32 s14, -1
	s_wait_loadcnt 0x0
	v_cmp_ne_u16_e32 vcc_lo, 0, v1
	v_cndmask_b32_e64 v1, 0, 1.0, vcc_lo
.LBB14_1249:
	s_branch .LBB14_1175
.LBB14_1250:
	s_cmp_lt_i32 s0, 5
	s_cbranch_scc1 .LBB14_1255
; %bb.1251:
	s_cmp_lt_i32 s0, 8
	s_cbranch_scc1 .LBB14_1256
; %bb.1252:
	;; [unrolled: 3-line block ×3, first 2 shown]
	s_cmp_gt_i32 s0, 9
	s_cbranch_scc0 .LBB14_1258
; %bb.1254:
	global_load_b64 v[6:7], v[4:5], off
	s_mov_b32 s9, 0
	s_wait_loadcnt 0x0
	v_cvt_f32_f64_e32 v1, v[6:7]
	s_branch .LBB14_1259
.LBB14_1255:
                                        ; implicit-def: $vgpr1
	s_branch .LBB14_1277
.LBB14_1256:
	s_mov_b32 s9, -1
                                        ; implicit-def: $vgpr1
	s_branch .LBB14_1265
.LBB14_1257:
	s_mov_b32 s9, -1
                                        ; implicit-def: $vgpr1
	s_branch .LBB14_1262
.LBB14_1258:
	s_mov_b32 s9, -1
                                        ; implicit-def: $vgpr1
.LBB14_1259:
	s_delay_alu instid0(SALU_CYCLE_1)
	s_and_not1_b32 vcc_lo, exec_lo, s9
	s_cbranch_vccnz .LBB14_1261
; %bb.1260:
	global_load_b32 v1, v[4:5], off
.LBB14_1261:
	s_mov_b32 s9, 0
.LBB14_1262:
	s_delay_alu instid0(SALU_CYCLE_1)
	s_and_not1_b32 vcc_lo, exec_lo, s9
	s_cbranch_vccnz .LBB14_1264
; %bb.1263:
	s_wait_loadcnt 0x0
	global_load_b32 v1, v[4:5], off
	s_wait_loadcnt 0x0
	v_cvt_f32_f16_e32 v1, v1
.LBB14_1264:
	s_mov_b32 s9, 0
.LBB14_1265:
	s_delay_alu instid0(SALU_CYCLE_1)
	s_and_not1_b32 vcc_lo, exec_lo, s9
	s_cbranch_vccnz .LBB14_1276
; %bb.1266:
	s_cmp_lt_i32 s0, 6
	s_cbranch_scc1 .LBB14_1269
; %bb.1267:
	s_cmp_gt_i32 s0, 6
	s_cbranch_scc0 .LBB14_1270
; %bb.1268:
	global_load_b64 v[6:7], v[4:5], off
	s_mov_b32 s9, 0
	s_wait_loadcnt 0x0
	v_cvt_f32_f64_e32 v1, v[6:7]
	s_branch .LBB14_1271
.LBB14_1269:
	s_mov_b32 s9, -1
                                        ; implicit-def: $vgpr1
	s_branch .LBB14_1274
.LBB14_1270:
	s_mov_b32 s9, -1
                                        ; implicit-def: $vgpr1
.LBB14_1271:
	s_delay_alu instid0(SALU_CYCLE_1)
	s_and_not1_b32 vcc_lo, exec_lo, s9
	s_cbranch_vccnz .LBB14_1273
; %bb.1272:
	s_wait_loadcnt 0x0
	global_load_b32 v1, v[4:5], off
.LBB14_1273:
	s_mov_b32 s9, 0
.LBB14_1274:
	s_delay_alu instid0(SALU_CYCLE_1)
	s_and_not1_b32 vcc_lo, exec_lo, s9
	s_cbranch_vccnz .LBB14_1276
; %bb.1275:
	s_wait_loadcnt 0x0
	global_load_u16 v1, v[4:5], off
	s_wait_loadcnt 0x0
	v_cvt_f32_f16_e32 v1, v1
.LBB14_1276:
	s_cbranch_execnz .LBB14_1296
.LBB14_1277:
	s_cmp_lt_i32 s0, 2
	s_cbranch_scc1 .LBB14_1281
; %bb.1278:
	s_cmp_lt_i32 s0, 3
	s_cbranch_scc1 .LBB14_1282
; %bb.1279:
	s_cmp_gt_i32 s0, 3
	s_cbranch_scc0 .LBB14_1283
; %bb.1280:
	global_load_b64 v[6:7], v[4:5], off
	s_mov_b32 s9, 0
	s_wait_loadcnt 0x0
	v_xor_b32_e32 v1, v6, v7
	v_cls_i32_e32 v3, v7
	s_delay_alu instid0(VALU_DEP_2) | instskip(NEXT) | instid1(VALU_DEP_1)
	v_ashrrev_i32_e32 v1, 31, v1
	v_add_nc_u32_e32 v1, 32, v1
	s_delay_alu instid0(VALU_DEP_1) | instskip(NEXT) | instid1(VALU_DEP_1)
	v_add_min_u32_e64 v1, v3, -1, v1
	v_lshlrev_b64_e32 v[6:7], v1, v[6:7]
	v_sub_nc_u32_e32 v1, 32, v1
	s_delay_alu instid0(VALU_DEP_2) | instskip(NEXT) | instid1(VALU_DEP_1)
	v_min_u32_e32 v3, 1, v6
	v_or_b32_e32 v3, v7, v3
	s_delay_alu instid0(VALU_DEP_1) | instskip(NEXT) | instid1(VALU_DEP_1)
	v_cvt_f32_i32_e32 v3, v3
	v_ldexp_f32 v1, v3, v1
	s_branch .LBB14_1284
.LBB14_1281:
	s_mov_b32 s9, -1
                                        ; implicit-def: $vgpr1
	s_branch .LBB14_1290
.LBB14_1282:
	s_mov_b32 s9, -1
                                        ; implicit-def: $vgpr1
	s_branch .LBB14_1287
.LBB14_1283:
	s_mov_b32 s9, -1
                                        ; implicit-def: $vgpr1
.LBB14_1284:
	s_delay_alu instid0(SALU_CYCLE_1)
	s_and_not1_b32 vcc_lo, exec_lo, s9
	s_cbranch_vccnz .LBB14_1286
; %bb.1285:
	s_wait_loadcnt 0x0
	global_load_b32 v1, v[4:5], off
	s_wait_loadcnt 0x0
	v_cvt_f32_i32_e32 v1, v1
.LBB14_1286:
	s_mov_b32 s9, 0
.LBB14_1287:
	s_delay_alu instid0(SALU_CYCLE_1)
	s_and_not1_b32 vcc_lo, exec_lo, s9
	s_cbranch_vccnz .LBB14_1289
; %bb.1288:
	s_wait_loadcnt 0x0
	global_load_i16 v1, v[4:5], off
	s_wait_loadcnt 0x0
	v_cvt_f32_i32_e32 v1, v1
.LBB14_1289:
	s_mov_b32 s9, 0
.LBB14_1290:
	s_delay_alu instid0(SALU_CYCLE_1)
	s_and_not1_b32 vcc_lo, exec_lo, s9
	s_cbranch_vccnz .LBB14_1296
; %bb.1291:
	s_cmp_gt_i32 s0, 0
	s_mov_b32 s9, 0
	s_cbranch_scc0 .LBB14_1293
; %bb.1292:
	s_wait_loadcnt 0x0
	global_load_i8 v1, v[4:5], off
	s_wait_loadcnt 0x0
	v_cvt_f32_i32_e32 v1, v1
	s_branch .LBB14_1294
.LBB14_1293:
	s_mov_b32 s9, -1
                                        ; implicit-def: $vgpr1
.LBB14_1294:
	s_delay_alu instid0(SALU_CYCLE_1)
	s_and_not1_b32 vcc_lo, exec_lo, s9
	s_cbranch_vccnz .LBB14_1296
; %bb.1295:
	s_wait_loadcnt 0x0
	global_load_u8 v1, v[4:5], off
	s_wait_loadcnt 0x0
	v_cvt_f32_ubyte0_e32 v1, v1
.LBB14_1296:
.LBB14_1297:
	s_wait_xcnt 0x0
	v_mov_b32_e32 v4, 1.0
	s_mov_b32 s9, exec_lo
	s_wait_loadcnt 0x0
	s_delay_alu instid0(VALU_DEP_2)
	v_cmpx_lt_f32_e32 s10, v1
	s_cbranch_execz .LBB14_1299
; %bb.1298:
	v_add_f32_e32 v1, 0x33d6bf95, v1
	s_delay_alu instid0(VALU_DEP_1) | instskip(NEXT) | instid1(VALU_DEP_1)
	v_div_scale_f32 v3, null, v1, v1, s10
	v_rcp_f32_e32 v4, v3
	v_nop
	s_delay_alu instid0(TRANS32_DEP_1) | instskip(NEXT) | instid1(VALU_DEP_1)
	v_fma_f32 v5, -v3, v4, 1.0
	v_fmac_f32_e32 v4, v5, v4
	v_div_scale_f32 v5, vcc_lo, s10, v1, s10
	s_delay_alu instid0(VALU_DEP_1) | instskip(NEXT) | instid1(VALU_DEP_1)
	v_mul_f32_e32 v6, v5, v4
	v_fma_f32 v7, -v3, v6, v5
	s_delay_alu instid0(VALU_DEP_1) | instskip(NEXT) | instid1(VALU_DEP_1)
	v_fmac_f32_e32 v6, v7, v4
	v_fma_f32 v3, -v3, v6, v5
	s_delay_alu instid0(VALU_DEP_1) | instskip(NEXT) | instid1(VALU_DEP_1)
	v_div_fmas_f32 v3, v3, v4, v6
	v_div_fixup_f32 v4, v3, v1, s10
.LBB14_1299:
	s_or_b32 exec_lo, exec_lo, s9
	v_add_nc_u32_e32 v0, s2, v0
	s_cmp_lt_i32 s0, 11
	s_delay_alu instid0(VALU_DEP_1) | instskip(NEXT) | instid1(VALU_DEP_1)
	v_ashrrev_i32_e32 v1, 31, v0
	v_add_nc_u64_e32 v[6:7], s[6:7], v[0:1]
	s_cbranch_scc1 .LBB14_1306
; %bb.1300:
	s_cmp_gt_i32 s0, 25
	s_mov_b32 s13, 0
	s_cbranch_scc0 .LBB14_1308
; %bb.1301:
	s_cmp_gt_i32 s0, 28
	s_cbranch_scc0 .LBB14_1309
; %bb.1302:
	s_cmp_gt_i32 s0, 43
	;; [unrolled: 3-line block ×3, first 2 shown]
	s_cbranch_scc0 .LBB14_1312
; %bb.1304:
	s_cmp_eq_u32 s0, 46
	s_mov_b32 s15, 0
	s_cbranch_scc0 .LBB14_1313
; %bb.1305:
	global_load_b32 v1, v[6:7], off
	s_mov_b32 s9, 0
	s_mov_b32 s14, -1
	s_wait_loadcnt 0x0
	v_lshlrev_b32_e32 v1, 16, v1
	s_branch .LBB14_1315
.LBB14_1306:
	s_mov_b32 s14, 0
                                        ; implicit-def: $vgpr1
	s_cbranch_execnz .LBB14_1381
.LBB14_1307:
	s_and_not1_b32 vcc_lo, exec_lo, s14
	s_cbranch_vccnz .LBB14_1642
	s_branch .LBB14_1429
.LBB14_1308:
	s_mov_b32 s15, -1
	s_mov_b32 s14, 0
	s_mov_b32 s9, 0
                                        ; implicit-def: $vgpr1
	s_branch .LBB14_1344
.LBB14_1309:
	s_mov_b32 s15, -1
	s_mov_b32 s14, 0
	s_mov_b32 s9, 0
                                        ; implicit-def: $vgpr1
	s_branch .LBB14_1325
.LBB14_1310:
	s_mov_b32 s15, -1
	s_mov_b32 s14, 0
	s_mov_b32 s9, 0
                                        ; implicit-def: $vgpr1
	s_branch .LBB14_1320
.LBB14_1311:
	s_or_b32 s1, s1, exec_lo
	s_trap 2
	s_cbranch_execz .LBB14_1248
	s_branch .LBB14_1249
.LBB14_1312:
	s_mov_b32 s15, -1
	s_mov_b32 s14, 0
	s_mov_b32 s9, 0
	s_branch .LBB14_1314
.LBB14_1313:
	s_mov_b32 s9, -1
	s_mov_b32 s14, 0
.LBB14_1314:
                                        ; implicit-def: $vgpr1
.LBB14_1315:
	s_and_b32 vcc_lo, exec_lo, s15
	s_cbranch_vccz .LBB14_1319
; %bb.1316:
	s_cmp_eq_u32 s0, 44
	s_cbranch_scc0 .LBB14_1318
; %bb.1317:
	global_load_u8 v1, v[6:7], off
	s_mov_b32 s9, 0
	s_mov_b32 s14, -1
	s_wait_loadcnt 0x0
	v_lshlrev_b32_e32 v3, 23, v1
	v_cmp_ne_u32_e32 vcc_lo, 0xff, v1
	s_delay_alu instid0(VALU_DEP_2) | instskip(SKIP_1) | instid1(VALU_DEP_2)
	v_cndmask_b32_e32 v3, 0x7f800001, v3, vcc_lo
	v_cmp_ne_u32_e32 vcc_lo, 0, v1
	v_cndmask_b32_e32 v1, 0x400000, v3, vcc_lo
	s_branch .LBB14_1319
.LBB14_1318:
	s_mov_b32 s9, -1
                                        ; implicit-def: $vgpr1
.LBB14_1319:
	s_mov_b32 s15, 0
.LBB14_1320:
	s_delay_alu instid0(SALU_CYCLE_1)
	s_and_b32 vcc_lo, exec_lo, s15
	s_cbranch_vccz .LBB14_1324
; %bb.1321:
	s_cmp_eq_u32 s0, 29
	s_cbranch_scc0 .LBB14_1323
; %bb.1322:
	global_load_b64 v[10:11], v[6:7], off
	s_mov_b32 s9, 0
	s_mov_b32 s14, -1
	s_mov_b32 s15, 0
	s_wait_loadcnt 0x0
	v_clz_i32_u32_e32 v1, v11
	s_delay_alu instid0(VALU_DEP_1) | instskip(NEXT) | instid1(VALU_DEP_1)
	v_min_u32_e32 v1, 32, v1
	v_lshlrev_b64_e32 v[10:11], v1, v[10:11]
	v_sub_nc_u32_e32 v1, 32, v1
	s_delay_alu instid0(VALU_DEP_2) | instskip(NEXT) | instid1(VALU_DEP_1)
	v_min_u32_e32 v3, 1, v10
	v_or_b32_e32 v3, v11, v3
	s_delay_alu instid0(VALU_DEP_1) | instskip(NEXT) | instid1(VALU_DEP_1)
	v_cvt_f32_u32_e32 v3, v3
	v_ldexp_f32 v1, v3, v1
	s_branch .LBB14_1325
.LBB14_1323:
	s_mov_b32 s9, -1
                                        ; implicit-def: $vgpr1
.LBB14_1324:
	s_mov_b32 s15, 0
.LBB14_1325:
	s_delay_alu instid0(SALU_CYCLE_1)
	s_and_b32 vcc_lo, exec_lo, s15
	s_cbranch_vccz .LBB14_1343
; %bb.1326:
	s_cmp_lt_i32 s0, 27
	s_cbranch_scc1 .LBB14_1329
; %bb.1327:
	s_cmp_gt_i32 s0, 27
	s_cbranch_scc0 .LBB14_1330
; %bb.1328:
	global_load_b32 v1, v[6:7], off
	s_mov_b32 s14, 0
	s_wait_loadcnt 0x0
	v_cvt_f32_u32_e32 v1, v1
	s_branch .LBB14_1331
.LBB14_1329:
	s_mov_b32 s14, -1
                                        ; implicit-def: $vgpr1
	s_branch .LBB14_1334
.LBB14_1330:
	s_mov_b32 s14, -1
                                        ; implicit-def: $vgpr1
.LBB14_1331:
	s_delay_alu instid0(SALU_CYCLE_1)
	s_and_not1_b32 vcc_lo, exec_lo, s14
	s_cbranch_vccnz .LBB14_1333
; %bb.1332:
	global_load_u16 v1, v[6:7], off
	s_wait_loadcnt 0x0
	v_cvt_f32_u32_e32 v1, v1
.LBB14_1333:
	s_mov_b32 s14, 0
.LBB14_1334:
	s_delay_alu instid0(SALU_CYCLE_1)
	s_and_not1_b32 vcc_lo, exec_lo, s14
	s_cbranch_vccnz .LBB14_1342
; %bb.1335:
	global_load_u8 v3, v[6:7], off
	s_mov_b32 s14, 0
	s_mov_b32 s15, exec_lo
	s_wait_loadcnt 0x0
	v_cmpx_lt_i16_e32 0x7f, v3
	s_xor_b32 s15, exec_lo, s15
	s_cbranch_execz .LBB14_1356
; %bb.1336:
	s_mov_b32 s14, -1
	s_mov_b32 s16, exec_lo
	v_cmpx_eq_u16_e32 0x80, v3
; %bb.1337:
	s_xor_b32 s14, exec_lo, -1
; %bb.1338:
	s_or_b32 exec_lo, exec_lo, s16
	s_delay_alu instid0(SALU_CYCLE_1)
	s_and_b32 s14, s14, exec_lo
	s_or_saveexec_b32 s15, s15
	v_mov_b32_e32 v1, 0x7f800001
	s_xor_b32 exec_lo, exec_lo, s15
	s_cbranch_execnz .LBB14_1357
.LBB14_1339:
	s_or_b32 exec_lo, exec_lo, s15
	s_and_saveexec_b32 s15, s14
	s_cbranch_execz .LBB14_1341
.LBB14_1340:
	v_and_b32_e32 v1, 0xffff, v3
	s_delay_alu instid0(VALU_DEP_1) | instskip(SKIP_1) | instid1(VALU_DEP_2)
	v_dual_lshlrev_b32 v3, 24, v3 :: v_dual_bitop2_b32 v5, 7, v1 bitop3:0x40
	v_bfe_u32 v11, v1, 3, 4
	v_and_b32_e32 v3, 0x80000000, v3
	s_delay_alu instid0(VALU_DEP_3) | instskip(NEXT) | instid1(VALU_DEP_3)
	v_clz_i32_u32_e32 v9, v5
	v_cmp_eq_u32_e32 vcc_lo, 0, v11
	s_delay_alu instid0(VALU_DEP_2) | instskip(NEXT) | instid1(VALU_DEP_1)
	v_min_u32_e32 v9, 32, v9
	v_subrev_nc_u32_e32 v10, 28, v9
	v_sub_nc_u32_e32 v9, 29, v9
	s_delay_alu instid0(VALU_DEP_2) | instskip(NEXT) | instid1(VALU_DEP_2)
	v_lshlrev_b32_e32 v1, v10, v1
	v_cndmask_b32_e32 v9, v11, v9, vcc_lo
	s_delay_alu instid0(VALU_DEP_2) | instskip(NEXT) | instid1(VALU_DEP_1)
	v_and_b32_e32 v1, 7, v1
	v_cndmask_b32_e32 v1, v5, v1, vcc_lo
	s_delay_alu instid0(VALU_DEP_3) | instskip(NEXT) | instid1(VALU_DEP_2)
	v_lshl_add_u32 v5, v9, 23, 0x3b800000
	v_lshlrev_b32_e32 v1, 20, v1
	s_delay_alu instid0(VALU_DEP_1)
	v_or3_b32 v1, v3, v5, v1
.LBB14_1341:
	s_or_b32 exec_lo, exec_lo, s15
.LBB14_1342:
	s_mov_b32 s14, -1
.LBB14_1343:
	s_mov_b32 s15, 0
.LBB14_1344:
	s_delay_alu instid0(SALU_CYCLE_1)
	s_and_b32 vcc_lo, exec_lo, s15
	s_cbranch_vccz .LBB14_1377
; %bb.1345:
	s_cmp_gt_i32 s0, 22
	s_cbranch_scc0 .LBB14_1355
; %bb.1346:
	s_cmp_lt_i32 s0, 24
	s_cbranch_scc1 .LBB14_1358
; %bb.1347:
	s_cmp_gt_i32 s0, 24
	s_cbranch_scc0 .LBB14_1359
; %bb.1348:
	global_load_u8 v3, v[6:7], off
	s_mov_b32 s14, exec_lo
	s_wait_loadcnt 0x0
	v_cmpx_lt_i16_e32 0x7f, v3
	s_xor_b32 s14, exec_lo, s14
	s_cbranch_execz .LBB14_1371
; %bb.1349:
	s_mov_b32 s13, -1
	s_mov_b32 s15, exec_lo
	v_cmpx_eq_u16_e32 0x80, v3
; %bb.1350:
	s_xor_b32 s13, exec_lo, -1
; %bb.1351:
	s_or_b32 exec_lo, exec_lo, s15
	s_delay_alu instid0(SALU_CYCLE_1)
	s_and_b32 s13, s13, exec_lo
	s_or_saveexec_b32 s14, s14
	v_mov_b32_e32 v1, 0x7f800001
	s_xor_b32 exec_lo, exec_lo, s14
	s_cbranch_execnz .LBB14_1372
.LBB14_1352:
	s_or_b32 exec_lo, exec_lo, s14
	s_and_saveexec_b32 s14, s13
	s_cbranch_execz .LBB14_1354
.LBB14_1353:
	v_and_b32_e32 v1, 0xffff, v3
	s_delay_alu instid0(VALU_DEP_1) | instskip(SKIP_1) | instid1(VALU_DEP_2)
	v_dual_lshlrev_b32 v3, 24, v3 :: v_dual_bitop2_b32 v5, 3, v1 bitop3:0x40
	v_bfe_u32 v11, v1, 2, 5
	v_and_b32_e32 v3, 0x80000000, v3
	s_delay_alu instid0(VALU_DEP_3) | instskip(NEXT) | instid1(VALU_DEP_3)
	v_clz_i32_u32_e32 v9, v5
	v_cmp_eq_u32_e32 vcc_lo, 0, v11
	s_delay_alu instid0(VALU_DEP_2) | instskip(NEXT) | instid1(VALU_DEP_1)
	v_min_u32_e32 v9, 32, v9
	v_subrev_nc_u32_e32 v10, 29, v9
	v_sub_nc_u32_e32 v9, 30, v9
	s_delay_alu instid0(VALU_DEP_2) | instskip(NEXT) | instid1(VALU_DEP_2)
	v_lshlrev_b32_e32 v1, v10, v1
	v_cndmask_b32_e32 v9, v11, v9, vcc_lo
	s_delay_alu instid0(VALU_DEP_2) | instskip(NEXT) | instid1(VALU_DEP_1)
	v_and_b32_e32 v1, 3, v1
	v_cndmask_b32_e32 v1, v5, v1, vcc_lo
	s_delay_alu instid0(VALU_DEP_3) | instskip(NEXT) | instid1(VALU_DEP_2)
	v_lshl_add_u32 v5, v9, 23, 0x37800000
	v_lshlrev_b32_e32 v1, 21, v1
	s_delay_alu instid0(VALU_DEP_1)
	v_or3_b32 v1, v3, v5, v1
.LBB14_1354:
	s_or_b32 exec_lo, exec_lo, s14
	s_mov_b32 s13, 0
	s_branch .LBB14_1360
.LBB14_1355:
	s_mov_b32 s13, -1
                                        ; implicit-def: $vgpr1
	s_branch .LBB14_1366
.LBB14_1356:
	s_or_saveexec_b32 s15, s15
	v_mov_b32_e32 v1, 0x7f800001
	s_xor_b32 exec_lo, exec_lo, s15
	s_cbranch_execz .LBB14_1339
.LBB14_1357:
	v_cmp_ne_u16_e32 vcc_lo, 0, v3
	v_mov_b32_e32 v1, 0
	s_and_not1_b32 s14, s14, exec_lo
	s_and_b32 s16, vcc_lo, exec_lo
	s_delay_alu instid0(SALU_CYCLE_1)
	s_or_b32 s14, s14, s16
	s_or_b32 exec_lo, exec_lo, s15
	s_and_saveexec_b32 s15, s14
	s_cbranch_execnz .LBB14_1340
	s_branch .LBB14_1341
.LBB14_1358:
	s_mov_b32 s13, -1
                                        ; implicit-def: $vgpr1
	s_branch .LBB14_1363
.LBB14_1359:
	s_mov_b32 s13, -1
                                        ; implicit-def: $vgpr1
.LBB14_1360:
	s_delay_alu instid0(SALU_CYCLE_1)
	s_and_b32 vcc_lo, exec_lo, s13
	s_cbranch_vccz .LBB14_1362
; %bb.1361:
	global_load_u8 v1, v[6:7], off
	s_wait_loadcnt 0x0
	v_lshlrev_b32_e32 v1, 24, v1
	s_delay_alu instid0(VALU_DEP_1) | instskip(NEXT) | instid1(VALU_DEP_1)
	v_and_b32_e32 v3, 0x7f000000, v1
	v_clz_i32_u32_e32 v5, v3
	v_cmp_ne_u32_e32 vcc_lo, 0, v3
	v_add_nc_u32_e32 v10, 0x1000000, v3
	s_delay_alu instid0(VALU_DEP_3) | instskip(NEXT) | instid1(VALU_DEP_1)
	v_min_u32_e32 v5, 32, v5
	v_sub_nc_u32_e64 v5, v5, 4 clamp
	s_delay_alu instid0(VALU_DEP_1) | instskip(NEXT) | instid1(VALU_DEP_1)
	v_dual_lshlrev_b32 v9, v5, v3 :: v_dual_lshlrev_b32 v5, 23, v5
	v_lshrrev_b32_e32 v9, 4, v9
	s_delay_alu instid0(VALU_DEP_1) | instskip(NEXT) | instid1(VALU_DEP_1)
	v_dual_sub_nc_u32 v5, v9, v5 :: v_dual_ashrrev_i32 v9, 8, v10
	v_add_nc_u32_e32 v5, 0x3c000000, v5
	s_delay_alu instid0(VALU_DEP_1) | instskip(NEXT) | instid1(VALU_DEP_1)
	v_and_or_b32 v5, 0x7f800000, v9, v5
	v_cndmask_b32_e32 v3, 0, v5, vcc_lo
	s_delay_alu instid0(VALU_DEP_1)
	v_and_or_b32 v1, 0x80000000, v1, v3
.LBB14_1362:
	s_mov_b32 s13, 0
.LBB14_1363:
	s_delay_alu instid0(SALU_CYCLE_1)
	s_and_not1_b32 vcc_lo, exec_lo, s13
	s_cbranch_vccnz .LBB14_1365
; %bb.1364:
	global_load_u8 v1, v[6:7], off
	s_wait_loadcnt 0x0
	v_lshlrev_b32_e32 v3, 25, v1
	v_lshlrev_b16 v1, 8, v1
	s_delay_alu instid0(VALU_DEP_2) | instskip(NEXT) | instid1(VALU_DEP_2)
	v_cmp_gt_u32_e32 vcc_lo, 0x8000000, v3
	v_and_or_b32 v9, 0x7f00, v1, 0.5
	v_lshrrev_b32_e32 v5, 4, v3
	v_bfe_i32 v1, v1, 0, 16
	s_delay_alu instid0(VALU_DEP_3) | instskip(NEXT) | instid1(VALU_DEP_3)
	v_add_f32_e32 v9, -0.5, v9
	v_or_b32_e32 v5, 0x70000000, v5
	s_delay_alu instid0(VALU_DEP_1) | instskip(NEXT) | instid1(VALU_DEP_1)
	v_mul_f32_e32 v5, 0x7800000, v5
	v_cndmask_b32_e32 v3, v5, v9, vcc_lo
	s_delay_alu instid0(VALU_DEP_1)
	v_and_or_b32 v1, 0x80000000, v1, v3
.LBB14_1365:
	s_mov_b32 s13, 0
	s_mov_b32 s14, -1
.LBB14_1366:
	s_and_not1_b32 vcc_lo, exec_lo, s13
	s_mov_b32 s13, 0
	s_cbranch_vccnz .LBB14_1377
; %bb.1367:
	s_cmp_gt_i32 s0, 14
	s_cbranch_scc0 .LBB14_1370
; %bb.1368:
	s_cmp_eq_u32 s0, 15
	s_cbranch_scc0 .LBB14_1373
; %bb.1369:
	global_load_u16 v1, v[6:7], off
	s_mov_b32 s9, 0
	s_mov_b32 s14, -1
	s_wait_loadcnt 0x0
	v_lshlrev_b32_e32 v1, 16, v1
	s_branch .LBB14_1375
.LBB14_1370:
	s_mov_b32 s13, -1
	s_branch .LBB14_1374
.LBB14_1371:
	s_or_saveexec_b32 s14, s14
	v_mov_b32_e32 v1, 0x7f800001
	s_xor_b32 exec_lo, exec_lo, s14
	s_cbranch_execz .LBB14_1352
.LBB14_1372:
	v_cmp_ne_u16_e32 vcc_lo, 0, v3
	v_mov_b32_e32 v1, 0
	s_and_not1_b32 s13, s13, exec_lo
	s_and_b32 s15, vcc_lo, exec_lo
	s_delay_alu instid0(SALU_CYCLE_1)
	s_or_b32 s13, s13, s15
	s_or_b32 exec_lo, exec_lo, s14
	s_and_saveexec_b32 s14, s13
	s_cbranch_execnz .LBB14_1353
	s_branch .LBB14_1354
.LBB14_1373:
	s_mov_b32 s9, -1
.LBB14_1374:
                                        ; implicit-def: $vgpr1
.LBB14_1375:
	s_and_b32 vcc_lo, exec_lo, s13
	s_mov_b32 s13, 0
	s_cbranch_vccz .LBB14_1377
; %bb.1376:
	s_cmp_lg_u32 s0, 11
	s_mov_b32 s13, -1
	s_cselect_b32 s9, -1, 0
.LBB14_1377:
	s_delay_alu instid0(SALU_CYCLE_1)
	s_and_b32 vcc_lo, exec_lo, s9
	s_cbranch_vccnz .LBB14_1442
; %bb.1378:
	s_and_not1_b32 vcc_lo, exec_lo, s13
	s_cbranch_vccnz .LBB14_1380
.LBB14_1379:
	global_load_u8 v1, v[6:7], off
	s_mov_b32 s14, -1
	s_wait_loadcnt 0x0
	v_cmp_ne_u16_e32 vcc_lo, 0, v1
	v_cndmask_b32_e64 v1, 0, 1.0, vcc_lo
.LBB14_1380:
	s_branch .LBB14_1307
.LBB14_1381:
	s_cmp_lt_i32 s0, 5
	s_cbranch_scc1 .LBB14_1386
; %bb.1382:
	s_cmp_lt_i32 s0, 8
	s_cbranch_scc1 .LBB14_1387
; %bb.1383:
	;; [unrolled: 3-line block ×3, first 2 shown]
	s_cmp_gt_i32 s0, 9
	s_cbranch_scc0 .LBB14_1389
; %bb.1385:
	global_load_b64 v[10:11], v[6:7], off
	s_mov_b32 s9, 0
	s_wait_loadcnt 0x0
	v_cvt_f32_f64_e32 v1, v[10:11]
	s_branch .LBB14_1390
.LBB14_1386:
	s_mov_b32 s9, -1
                                        ; implicit-def: $vgpr1
	s_branch .LBB14_1408
.LBB14_1387:
	s_mov_b32 s9, -1
                                        ; implicit-def: $vgpr1
	s_branch .LBB14_1396
.LBB14_1388:
	s_mov_b32 s9, -1
                                        ; implicit-def: $vgpr1
	s_branch .LBB14_1393
.LBB14_1389:
	s_mov_b32 s9, -1
                                        ; implicit-def: $vgpr1
.LBB14_1390:
	s_delay_alu instid0(SALU_CYCLE_1)
	s_and_not1_b32 vcc_lo, exec_lo, s9
	s_cbranch_vccnz .LBB14_1392
; %bb.1391:
	global_load_b32 v1, v[6:7], off
.LBB14_1392:
	s_mov_b32 s9, 0
.LBB14_1393:
	s_delay_alu instid0(SALU_CYCLE_1)
	s_and_not1_b32 vcc_lo, exec_lo, s9
	s_cbranch_vccnz .LBB14_1395
; %bb.1394:
	s_wait_loadcnt 0x0
	global_load_b32 v1, v[6:7], off
	s_wait_loadcnt 0x0
	v_cvt_f32_f16_e32 v1, v1
.LBB14_1395:
	s_mov_b32 s9, 0
.LBB14_1396:
	s_delay_alu instid0(SALU_CYCLE_1)
	s_and_not1_b32 vcc_lo, exec_lo, s9
	s_cbranch_vccnz .LBB14_1407
; %bb.1397:
	s_cmp_lt_i32 s0, 6
	s_cbranch_scc1 .LBB14_1400
; %bb.1398:
	s_cmp_gt_i32 s0, 6
	s_cbranch_scc0 .LBB14_1401
; %bb.1399:
	global_load_b64 v[10:11], v[6:7], off
	s_mov_b32 s9, 0
	s_wait_loadcnt 0x0
	v_cvt_f32_f64_e32 v1, v[10:11]
	s_branch .LBB14_1402
.LBB14_1400:
	s_mov_b32 s9, -1
                                        ; implicit-def: $vgpr1
	s_branch .LBB14_1405
.LBB14_1401:
	s_mov_b32 s9, -1
                                        ; implicit-def: $vgpr1
.LBB14_1402:
	s_delay_alu instid0(SALU_CYCLE_1)
	s_and_not1_b32 vcc_lo, exec_lo, s9
	s_cbranch_vccnz .LBB14_1404
; %bb.1403:
	s_wait_loadcnt 0x0
	global_load_b32 v1, v[6:7], off
.LBB14_1404:
	s_mov_b32 s9, 0
.LBB14_1405:
	s_delay_alu instid0(SALU_CYCLE_1)
	s_and_not1_b32 vcc_lo, exec_lo, s9
	s_cbranch_vccnz .LBB14_1407
; %bb.1406:
	s_wait_loadcnt 0x0
	global_load_u16 v1, v[6:7], off
	s_wait_loadcnt 0x0
	v_cvt_f32_f16_e32 v1, v1
.LBB14_1407:
	s_mov_b32 s9, 0
.LBB14_1408:
	s_delay_alu instid0(SALU_CYCLE_1)
	s_and_not1_b32 vcc_lo, exec_lo, s9
	s_cbranch_vccnz .LBB14_1428
; %bb.1409:
	s_cmp_lt_i32 s0, 2
	s_cbranch_scc1 .LBB14_1413
; %bb.1410:
	s_cmp_lt_i32 s0, 3
	s_cbranch_scc1 .LBB14_1414
; %bb.1411:
	s_cmp_gt_i32 s0, 3
	s_cbranch_scc0 .LBB14_1415
; %bb.1412:
	global_load_b64 v[10:11], v[6:7], off
	s_mov_b32 s9, 0
	s_wait_loadcnt 0x0
	v_xor_b32_e32 v1, v10, v11
	v_cls_i32_e32 v3, v11
	s_delay_alu instid0(VALU_DEP_2) | instskip(NEXT) | instid1(VALU_DEP_1)
	v_ashrrev_i32_e32 v1, 31, v1
	v_add_nc_u32_e32 v1, 32, v1
	s_delay_alu instid0(VALU_DEP_1) | instskip(NEXT) | instid1(VALU_DEP_1)
	v_add_min_u32_e64 v1, v3, -1, v1
	v_lshlrev_b64_e32 v[10:11], v1, v[10:11]
	v_sub_nc_u32_e32 v1, 32, v1
	s_delay_alu instid0(VALU_DEP_2) | instskip(NEXT) | instid1(VALU_DEP_1)
	v_min_u32_e32 v3, 1, v10
	v_or_b32_e32 v3, v11, v3
	s_delay_alu instid0(VALU_DEP_1) | instskip(NEXT) | instid1(VALU_DEP_1)
	v_cvt_f32_i32_e32 v3, v3
	v_ldexp_f32 v1, v3, v1
	s_branch .LBB14_1416
.LBB14_1413:
	s_mov_b32 s9, -1
                                        ; implicit-def: $vgpr1
	s_branch .LBB14_1422
.LBB14_1414:
	s_mov_b32 s9, -1
                                        ; implicit-def: $vgpr1
	s_branch .LBB14_1419
.LBB14_1415:
	s_mov_b32 s9, -1
                                        ; implicit-def: $vgpr1
.LBB14_1416:
	s_delay_alu instid0(SALU_CYCLE_1)
	s_and_not1_b32 vcc_lo, exec_lo, s9
	s_cbranch_vccnz .LBB14_1418
; %bb.1417:
	s_wait_loadcnt 0x0
	global_load_b32 v1, v[6:7], off
	s_wait_loadcnt 0x0
	v_cvt_f32_i32_e32 v1, v1
.LBB14_1418:
	s_mov_b32 s9, 0
.LBB14_1419:
	s_delay_alu instid0(SALU_CYCLE_1)
	s_and_not1_b32 vcc_lo, exec_lo, s9
	s_cbranch_vccnz .LBB14_1421
; %bb.1420:
	s_wait_loadcnt 0x0
	global_load_i16 v1, v[6:7], off
	s_wait_loadcnt 0x0
	v_cvt_f32_i32_e32 v1, v1
.LBB14_1421:
	s_mov_b32 s9, 0
.LBB14_1422:
	s_delay_alu instid0(SALU_CYCLE_1)
	s_and_not1_b32 vcc_lo, exec_lo, s9
	s_cbranch_vccnz .LBB14_1428
; %bb.1423:
	s_cmp_gt_i32 s0, 0
	s_mov_b32 s9, 0
	s_cbranch_scc0 .LBB14_1425
; %bb.1424:
	s_wait_loadcnt 0x0
	global_load_i8 v1, v[6:7], off
	s_wait_loadcnt 0x0
	v_cvt_f32_i32_e32 v1, v1
	s_branch .LBB14_1426
.LBB14_1425:
	s_mov_b32 s9, -1
                                        ; implicit-def: $vgpr1
.LBB14_1426:
	s_delay_alu instid0(SALU_CYCLE_1)
	s_and_not1_b32 vcc_lo, exec_lo, s9
	s_cbranch_vccnz .LBB14_1428
; %bb.1427:
	s_wait_loadcnt 0x0
	global_load_u8 v1, v[6:7], off
	s_wait_loadcnt 0x0
	v_cvt_f32_ubyte0_e32 v1, v1
.LBB14_1428:
.LBB14_1429:
	s_wait_xcnt 0x0
	v_mov_b32_e32 v6, 1.0
	s_mov_b32 s9, exec_lo
	s_wait_loadcnt 0x0
	s_delay_alu instid0(VALU_DEP_2)
	v_cmpx_lt_f32_e32 s10, v1
	s_cbranch_execz .LBB14_1431
; %bb.1430:
	v_add_f32_e32 v1, 0x33d6bf95, v1
	s_delay_alu instid0(VALU_DEP_1) | instskip(NEXT) | instid1(VALU_DEP_1)
	v_div_scale_f32 v3, null, v1, v1, s10
	v_rcp_f32_e32 v5, v3
	v_nop
	s_delay_alu instid0(TRANS32_DEP_1) | instskip(NEXT) | instid1(VALU_DEP_1)
	v_fma_f32 v6, -v3, v5, 1.0
	v_fmac_f32_e32 v5, v6, v5
	v_div_scale_f32 v6, vcc_lo, s10, v1, s10
	s_delay_alu instid0(VALU_DEP_1) | instskip(NEXT) | instid1(VALU_DEP_1)
	v_mul_f32_e32 v7, v6, v5
	v_fma_f32 v9, -v3, v7, v6
	s_delay_alu instid0(VALU_DEP_1) | instskip(NEXT) | instid1(VALU_DEP_1)
	v_fmac_f32_e32 v7, v9, v5
	v_fma_f32 v3, -v3, v7, v6
	s_delay_alu instid0(VALU_DEP_1) | instskip(NEXT) | instid1(VALU_DEP_1)
	v_div_fmas_f32 v3, v3, v5, v7
	v_div_fixup_f32 v6, v3, v1, s10
.LBB14_1431:
	s_or_b32 exec_lo, exec_lo, s9
	v_add_nc_u32_e32 v0, s2, v0
	s_cmp_lt_i32 s0, 11
	s_delay_alu instid0(VALU_DEP_1) | instskip(NEXT) | instid1(VALU_DEP_1)
	v_ashrrev_i32_e32 v1, 31, v0
	v_add_nc_u64_e32 v[0:1], s[6:7], v[0:1]
	s_cbranch_scc1 .LBB14_1438
; %bb.1432:
	s_cmp_gt_i32 s0, 25
	s_mov_b32 s6, 0
	s_cbranch_scc0 .LBB14_1439
; %bb.1433:
	s_cmp_gt_i32 s0, 28
	s_cbranch_scc0 .LBB14_1440
; %bb.1434:
	s_cmp_gt_i32 s0, 43
	;; [unrolled: 3-line block ×3, first 2 shown]
	s_cbranch_scc0 .LBB14_1443
; %bb.1436:
	s_cmp_eq_u32 s0, 46
	s_mov_b32 s9, 0
	s_cbranch_scc0 .LBB14_1444
; %bb.1437:
	global_load_b32 v3, v[0:1], off
	s_mov_b32 s2, 0
	s_mov_b32 s7, -1
	s_wait_loadcnt 0x0
	v_lshlrev_b32_e32 v3, 16, v3
	s_branch .LBB14_1446
.LBB14_1438:
	s_mov_b32 s2, -1
	s_mov_b32 s7, 0
                                        ; implicit-def: $vgpr3
	s_branch .LBB14_1512
.LBB14_1439:
	s_mov_b32 s9, -1
	s_mov_b32 s7, 0
	s_mov_b32 s2, 0
                                        ; implicit-def: $vgpr3
	s_branch .LBB14_1475
.LBB14_1440:
	s_mov_b32 s9, -1
	s_mov_b32 s7, 0
	s_mov_b32 s2, 0
                                        ; implicit-def: $vgpr3
	s_branch .LBB14_1456
.LBB14_1441:
	s_mov_b32 s9, -1
	s_mov_b32 s7, 0
	s_mov_b32 s2, 0
                                        ; implicit-def: $vgpr3
	s_branch .LBB14_1451
.LBB14_1442:
	s_or_b32 s1, s1, exec_lo
	s_trap 2
	s_cbranch_execz .LBB14_1379
	s_branch .LBB14_1380
.LBB14_1443:
	s_mov_b32 s9, -1
	s_mov_b32 s7, 0
	s_mov_b32 s2, 0
	s_branch .LBB14_1445
.LBB14_1444:
	s_mov_b32 s2, -1
	s_mov_b32 s7, 0
.LBB14_1445:
                                        ; implicit-def: $vgpr3
.LBB14_1446:
	s_and_b32 vcc_lo, exec_lo, s9
	s_cbranch_vccz .LBB14_1450
; %bb.1447:
	s_cmp_eq_u32 s0, 44
	s_cbranch_scc0 .LBB14_1449
; %bb.1448:
	global_load_u8 v3, v[0:1], off
	s_mov_b32 s2, 0
	s_mov_b32 s7, -1
	s_wait_loadcnt 0x0
	v_lshlrev_b32_e32 v5, 23, v3
	v_cmp_ne_u32_e32 vcc_lo, 0xff, v3
	s_delay_alu instid0(VALU_DEP_2) | instskip(SKIP_1) | instid1(VALU_DEP_2)
	v_cndmask_b32_e32 v5, 0x7f800001, v5, vcc_lo
	v_cmp_ne_u32_e32 vcc_lo, 0, v3
	v_cndmask_b32_e32 v3, 0x400000, v5, vcc_lo
	s_branch .LBB14_1450
.LBB14_1449:
	s_mov_b32 s2, -1
                                        ; implicit-def: $vgpr3
.LBB14_1450:
	s_mov_b32 s9, 0
.LBB14_1451:
	s_delay_alu instid0(SALU_CYCLE_1)
	s_and_b32 vcc_lo, exec_lo, s9
	s_cbranch_vccz .LBB14_1455
; %bb.1452:
	s_cmp_eq_u32 s0, 29
	s_cbranch_scc0 .LBB14_1454
; %bb.1453:
	global_load_b64 v[10:11], v[0:1], off
	s_mov_b32 s2, 0
	s_mov_b32 s7, -1
	s_mov_b32 s9, 0
	s_wait_loadcnt 0x0
	v_clz_i32_u32_e32 v3, v11
	s_delay_alu instid0(VALU_DEP_1) | instskip(NEXT) | instid1(VALU_DEP_1)
	v_min_u32_e32 v3, 32, v3
	v_lshlrev_b64_e32 v[10:11], v3, v[10:11]
	v_sub_nc_u32_e32 v3, 32, v3
	s_delay_alu instid0(VALU_DEP_2) | instskip(NEXT) | instid1(VALU_DEP_1)
	v_min_u32_e32 v5, 1, v10
	v_or_b32_e32 v5, v11, v5
	s_delay_alu instid0(VALU_DEP_1) | instskip(NEXT) | instid1(VALU_DEP_1)
	v_cvt_f32_u32_e32 v5, v5
	v_ldexp_f32 v3, v5, v3
	s_branch .LBB14_1456
.LBB14_1454:
	s_mov_b32 s2, -1
                                        ; implicit-def: $vgpr3
.LBB14_1455:
	s_mov_b32 s9, 0
.LBB14_1456:
	s_delay_alu instid0(SALU_CYCLE_1)
	s_and_b32 vcc_lo, exec_lo, s9
	s_cbranch_vccz .LBB14_1474
; %bb.1457:
	s_cmp_lt_i32 s0, 27
	s_cbranch_scc1 .LBB14_1460
; %bb.1458:
	s_cmp_gt_i32 s0, 27
	s_cbranch_scc0 .LBB14_1461
; %bb.1459:
	global_load_b32 v3, v[0:1], off
	s_mov_b32 s7, 0
	s_wait_loadcnt 0x0
	v_cvt_f32_u32_e32 v3, v3
	s_branch .LBB14_1462
.LBB14_1460:
	s_mov_b32 s7, -1
                                        ; implicit-def: $vgpr3
	s_branch .LBB14_1465
.LBB14_1461:
	s_mov_b32 s7, -1
                                        ; implicit-def: $vgpr3
.LBB14_1462:
	s_delay_alu instid0(SALU_CYCLE_1)
	s_and_not1_b32 vcc_lo, exec_lo, s7
	s_cbranch_vccnz .LBB14_1464
; %bb.1463:
	global_load_u16 v3, v[0:1], off
	s_wait_loadcnt 0x0
	v_cvt_f32_u32_e32 v3, v3
.LBB14_1464:
	s_mov_b32 s7, 0
.LBB14_1465:
	s_delay_alu instid0(SALU_CYCLE_1)
	s_and_not1_b32 vcc_lo, exec_lo, s7
	s_cbranch_vccnz .LBB14_1473
; %bb.1466:
	global_load_u8 v5, v[0:1], off
	s_mov_b32 s7, 0
	s_mov_b32 s9, exec_lo
	s_wait_loadcnt 0x0
	v_cmpx_lt_i16_e32 0x7f, v5
	s_xor_b32 s9, exec_lo, s9
	s_cbranch_execz .LBB14_1487
; %bb.1467:
	s_mov_b32 s7, -1
	s_mov_b32 s13, exec_lo
	v_cmpx_eq_u16_e32 0x80, v5
; %bb.1468:
	s_xor_b32 s7, exec_lo, -1
; %bb.1469:
	s_or_b32 exec_lo, exec_lo, s13
	s_delay_alu instid0(SALU_CYCLE_1)
	s_and_b32 s7, s7, exec_lo
	s_or_saveexec_b32 s9, s9
	v_mov_b32_e32 v3, 0x7f800001
	s_xor_b32 exec_lo, exec_lo, s9
	s_cbranch_execnz .LBB14_1488
.LBB14_1470:
	s_or_b32 exec_lo, exec_lo, s9
	s_and_saveexec_b32 s9, s7
	s_cbranch_execz .LBB14_1472
.LBB14_1471:
	v_and_b32_e32 v3, 0xffff, v5
	s_delay_alu instid0(VALU_DEP_1) | instskip(SKIP_1) | instid1(VALU_DEP_2)
	v_and_b32_e32 v7, 7, v3
	v_bfe_u32 v11, v3, 3, 4
	v_clz_i32_u32_e32 v9, v7
	s_delay_alu instid0(VALU_DEP_2) | instskip(NEXT) | instid1(VALU_DEP_2)
	v_cmp_eq_u32_e32 vcc_lo, 0, v11
	v_min_u32_e32 v9, 32, v9
	s_delay_alu instid0(VALU_DEP_1) | instskip(NEXT) | instid1(VALU_DEP_1)
	v_subrev_nc_u32_e32 v10, 28, v9
	v_dual_lshlrev_b32 v3, v10, v3 :: v_dual_sub_nc_u32 v9, 29, v9
	s_delay_alu instid0(VALU_DEP_1) | instskip(NEXT) | instid1(VALU_DEP_1)
	v_dual_lshlrev_b32 v5, 24, v5 :: v_dual_bitop2_b32 v3, 7, v3 bitop3:0x40
	v_cndmask_b32_e32 v3, v7, v3, vcc_lo
	s_delay_alu instid0(VALU_DEP_3) | instskip(NEXT) | instid1(VALU_DEP_3)
	v_cndmask_b32_e32 v9, v11, v9, vcc_lo
	v_and_b32_e32 v5, 0x80000000, v5
	s_delay_alu instid0(VALU_DEP_3) | instskip(NEXT) | instid1(VALU_DEP_3)
	v_lshlrev_b32_e32 v3, 20, v3
	v_lshl_add_u32 v7, v9, 23, 0x3b800000
	s_delay_alu instid0(VALU_DEP_1)
	v_or3_b32 v3, v5, v7, v3
.LBB14_1472:
	s_or_b32 exec_lo, exec_lo, s9
.LBB14_1473:
	s_mov_b32 s7, -1
.LBB14_1474:
	s_mov_b32 s9, 0
.LBB14_1475:
	s_delay_alu instid0(SALU_CYCLE_1)
	s_and_b32 vcc_lo, exec_lo, s9
	s_cbranch_vccz .LBB14_1508
; %bb.1476:
	s_cmp_gt_i32 s0, 22
	s_cbranch_scc0 .LBB14_1486
; %bb.1477:
	s_cmp_lt_i32 s0, 24
	s_cbranch_scc1 .LBB14_1489
; %bb.1478:
	s_cmp_gt_i32 s0, 24
	s_cbranch_scc0 .LBB14_1490
; %bb.1479:
	global_load_u8 v5, v[0:1], off
	s_mov_b32 s7, exec_lo
	s_wait_loadcnt 0x0
	v_cmpx_lt_i16_e32 0x7f, v5
	s_xor_b32 s7, exec_lo, s7
	s_cbranch_execz .LBB14_1502
; %bb.1480:
	s_mov_b32 s6, -1
	s_mov_b32 s9, exec_lo
	v_cmpx_eq_u16_e32 0x80, v5
; %bb.1481:
	s_xor_b32 s6, exec_lo, -1
; %bb.1482:
	s_or_b32 exec_lo, exec_lo, s9
	s_delay_alu instid0(SALU_CYCLE_1)
	s_and_b32 s6, s6, exec_lo
	s_or_saveexec_b32 s7, s7
	v_mov_b32_e32 v3, 0x7f800001
	s_xor_b32 exec_lo, exec_lo, s7
	s_cbranch_execnz .LBB14_1503
.LBB14_1483:
	s_or_b32 exec_lo, exec_lo, s7
	s_and_saveexec_b32 s7, s6
	s_cbranch_execz .LBB14_1485
.LBB14_1484:
	v_and_b32_e32 v3, 0xffff, v5
	s_delay_alu instid0(VALU_DEP_1) | instskip(SKIP_1) | instid1(VALU_DEP_2)
	v_and_b32_e32 v7, 3, v3
	v_bfe_u32 v11, v3, 2, 5
	v_clz_i32_u32_e32 v9, v7
	s_delay_alu instid0(VALU_DEP_2) | instskip(NEXT) | instid1(VALU_DEP_2)
	v_cmp_eq_u32_e32 vcc_lo, 0, v11
	v_min_u32_e32 v9, 32, v9
	s_delay_alu instid0(VALU_DEP_1) | instskip(NEXT) | instid1(VALU_DEP_1)
	v_subrev_nc_u32_e32 v10, 29, v9
	v_dual_lshlrev_b32 v3, v10, v3 :: v_dual_sub_nc_u32 v9, 30, v9
	s_delay_alu instid0(VALU_DEP_1) | instskip(NEXT) | instid1(VALU_DEP_1)
	v_dual_lshlrev_b32 v5, 24, v5 :: v_dual_bitop2_b32 v3, 3, v3 bitop3:0x40
	v_cndmask_b32_e32 v3, v7, v3, vcc_lo
	s_delay_alu instid0(VALU_DEP_3) | instskip(NEXT) | instid1(VALU_DEP_3)
	v_cndmask_b32_e32 v9, v11, v9, vcc_lo
	v_and_b32_e32 v5, 0x80000000, v5
	s_delay_alu instid0(VALU_DEP_3) | instskip(NEXT) | instid1(VALU_DEP_3)
	v_lshlrev_b32_e32 v3, 21, v3
	v_lshl_add_u32 v7, v9, 23, 0x37800000
	s_delay_alu instid0(VALU_DEP_1)
	v_or3_b32 v3, v5, v7, v3
.LBB14_1485:
	s_or_b32 exec_lo, exec_lo, s7
	s_mov_b32 s6, 0
	s_branch .LBB14_1491
.LBB14_1486:
	s_mov_b32 s6, -1
                                        ; implicit-def: $vgpr3
	s_branch .LBB14_1497
.LBB14_1487:
	s_or_saveexec_b32 s9, s9
	v_mov_b32_e32 v3, 0x7f800001
	s_xor_b32 exec_lo, exec_lo, s9
	s_cbranch_execz .LBB14_1470
.LBB14_1488:
	v_cmp_ne_u16_e32 vcc_lo, 0, v5
	v_mov_b32_e32 v3, 0
	s_and_not1_b32 s7, s7, exec_lo
	s_and_b32 s13, vcc_lo, exec_lo
	s_delay_alu instid0(SALU_CYCLE_1)
	s_or_b32 s7, s7, s13
	s_or_b32 exec_lo, exec_lo, s9
	s_and_saveexec_b32 s9, s7
	s_cbranch_execnz .LBB14_1471
	s_branch .LBB14_1472
.LBB14_1489:
	s_mov_b32 s6, -1
                                        ; implicit-def: $vgpr3
	s_branch .LBB14_1494
.LBB14_1490:
	s_mov_b32 s6, -1
                                        ; implicit-def: $vgpr3
.LBB14_1491:
	s_delay_alu instid0(SALU_CYCLE_1)
	s_and_b32 vcc_lo, exec_lo, s6
	s_cbranch_vccz .LBB14_1493
; %bb.1492:
	global_load_u8 v3, v[0:1], off
	s_wait_loadcnt 0x0
	v_lshlrev_b32_e32 v3, 24, v3
	s_delay_alu instid0(VALU_DEP_1) | instskip(NEXT) | instid1(VALU_DEP_1)
	v_and_b32_e32 v5, 0x7f000000, v3
	v_clz_i32_u32_e32 v7, v5
	v_cmp_ne_u32_e32 vcc_lo, 0, v5
	v_add_nc_u32_e32 v10, 0x1000000, v5
	s_delay_alu instid0(VALU_DEP_3) | instskip(NEXT) | instid1(VALU_DEP_1)
	v_min_u32_e32 v7, 32, v7
	v_sub_nc_u32_e64 v7, v7, 4 clamp
	s_delay_alu instid0(VALU_DEP_1) | instskip(NEXT) | instid1(VALU_DEP_1)
	v_dual_lshlrev_b32 v9, v7, v5 :: v_dual_lshlrev_b32 v7, 23, v7
	v_lshrrev_b32_e32 v9, 4, v9
	s_delay_alu instid0(VALU_DEP_1) | instskip(NEXT) | instid1(VALU_DEP_1)
	v_dual_sub_nc_u32 v7, v9, v7 :: v_dual_ashrrev_i32 v9, 8, v10
	v_add_nc_u32_e32 v7, 0x3c000000, v7
	s_delay_alu instid0(VALU_DEP_1) | instskip(NEXT) | instid1(VALU_DEP_1)
	v_and_or_b32 v7, 0x7f800000, v9, v7
	v_cndmask_b32_e32 v5, 0, v7, vcc_lo
	s_delay_alu instid0(VALU_DEP_1)
	v_and_or_b32 v3, 0x80000000, v3, v5
.LBB14_1493:
	s_mov_b32 s6, 0
.LBB14_1494:
	s_delay_alu instid0(SALU_CYCLE_1)
	s_and_not1_b32 vcc_lo, exec_lo, s6
	s_cbranch_vccnz .LBB14_1496
; %bb.1495:
	global_load_u8 v3, v[0:1], off
	s_wait_loadcnt 0x0
	v_lshlrev_b32_e32 v5, 25, v3
	v_lshlrev_b16 v3, 8, v3
	s_delay_alu instid0(VALU_DEP_1) | instskip(SKIP_1) | instid1(VALU_DEP_2)
	v_and_or_b32 v9, 0x7f00, v3, 0.5
	v_bfe_i32 v3, v3, 0, 16
	v_add_f32_e32 v9, -0.5, v9
	v_lshrrev_b32_e32 v7, 4, v5
	v_cmp_gt_u32_e32 vcc_lo, 0x8000000, v5
	s_delay_alu instid0(VALU_DEP_2) | instskip(NEXT) | instid1(VALU_DEP_1)
	v_or_b32_e32 v7, 0x70000000, v7
	v_mul_f32_e32 v7, 0x7800000, v7
	s_delay_alu instid0(VALU_DEP_1) | instskip(NEXT) | instid1(VALU_DEP_1)
	v_cndmask_b32_e32 v5, v7, v9, vcc_lo
	v_and_or_b32 v3, 0x80000000, v3, v5
.LBB14_1496:
	s_mov_b32 s6, 0
	s_mov_b32 s7, -1
.LBB14_1497:
	s_and_not1_b32 vcc_lo, exec_lo, s6
	s_mov_b32 s6, 0
	s_cbranch_vccnz .LBB14_1508
; %bb.1498:
	s_cmp_gt_i32 s0, 14
	s_cbranch_scc0 .LBB14_1501
; %bb.1499:
	s_cmp_eq_u32 s0, 15
	s_cbranch_scc0 .LBB14_1504
; %bb.1500:
	global_load_u16 v3, v[0:1], off
	s_mov_b32 s2, 0
	s_mov_b32 s7, -1
	s_wait_loadcnt 0x0
	v_lshlrev_b32_e32 v3, 16, v3
	s_branch .LBB14_1506
.LBB14_1501:
	s_mov_b32 s6, -1
	s_branch .LBB14_1505
.LBB14_1502:
	s_or_saveexec_b32 s7, s7
	v_mov_b32_e32 v3, 0x7f800001
	s_xor_b32 exec_lo, exec_lo, s7
	s_cbranch_execz .LBB14_1483
.LBB14_1503:
	v_cmp_ne_u16_e32 vcc_lo, 0, v5
	v_mov_b32_e32 v3, 0
	s_and_not1_b32 s6, s6, exec_lo
	s_and_b32 s9, vcc_lo, exec_lo
	s_delay_alu instid0(SALU_CYCLE_1)
	s_or_b32 s6, s6, s9
	s_or_b32 exec_lo, exec_lo, s7
	s_and_saveexec_b32 s7, s6
	s_cbranch_execnz .LBB14_1484
	s_branch .LBB14_1485
.LBB14_1504:
	s_mov_b32 s2, -1
.LBB14_1505:
                                        ; implicit-def: $vgpr3
.LBB14_1506:
	s_and_b32 vcc_lo, exec_lo, s6
	s_mov_b32 s6, 0
	s_cbranch_vccz .LBB14_1508
; %bb.1507:
	s_cmp_lg_u32 s0, 11
	s_mov_b32 s6, -1
	s_cselect_b32 s2, -1, 0
.LBB14_1508:
	s_delay_alu instid0(SALU_CYCLE_1)
	s_and_b32 vcc_lo, exec_lo, s2
	s_cbranch_vccnz .LBB14_2044
; %bb.1509:
	s_and_not1_b32 vcc_lo, exec_lo, s6
	s_cbranch_vccnz .LBB14_1511
.LBB14_1510:
	global_load_u8 v3, v[0:1], off
	s_mov_b32 s7, -1
	s_wait_loadcnt 0x0
	v_cmp_ne_u16_e32 vcc_lo, 0, v3
	v_cndmask_b32_e64 v3, 0, 1.0, vcc_lo
.LBB14_1511:
	s_mov_b32 s2, 0
.LBB14_1512:
	s_delay_alu instid0(SALU_CYCLE_1)
	s_and_b32 vcc_lo, exec_lo, s2
	s_cbranch_vccz .LBB14_1561
; %bb.1513:
	s_cmp_lt_i32 s0, 5
	s_cbranch_scc1 .LBB14_1518
; %bb.1514:
	s_cmp_lt_i32 s0, 8
	s_cbranch_scc1 .LBB14_1519
	;; [unrolled: 3-line block ×3, first 2 shown]
; %bb.1516:
	s_cmp_gt_i32 s0, 9
	s_cbranch_scc0 .LBB14_1521
; %bb.1517:
	global_load_b64 v[10:11], v[0:1], off
	s_mov_b32 s2, 0
	s_wait_loadcnt 0x0
	v_cvt_f32_f64_e32 v3, v[10:11]
	s_branch .LBB14_1522
.LBB14_1518:
	s_mov_b32 s2, -1
                                        ; implicit-def: $vgpr3
	s_branch .LBB14_1540
.LBB14_1519:
	s_mov_b32 s2, -1
                                        ; implicit-def: $vgpr3
	s_branch .LBB14_1528
.LBB14_1520:
	s_mov_b32 s2, -1
                                        ; implicit-def: $vgpr3
	s_branch .LBB14_1525
.LBB14_1521:
	s_mov_b32 s2, -1
                                        ; implicit-def: $vgpr3
.LBB14_1522:
	s_delay_alu instid0(SALU_CYCLE_1)
	s_and_not1_b32 vcc_lo, exec_lo, s2
	s_cbranch_vccnz .LBB14_1524
; %bb.1523:
	global_load_b32 v3, v[0:1], off
.LBB14_1524:
	s_mov_b32 s2, 0
.LBB14_1525:
	s_delay_alu instid0(SALU_CYCLE_1)
	s_and_not1_b32 vcc_lo, exec_lo, s2
	s_cbranch_vccnz .LBB14_1527
; %bb.1526:
	s_wait_loadcnt 0x0
	global_load_b32 v3, v[0:1], off
	s_wait_loadcnt 0x0
	v_cvt_f32_f16_e32 v3, v3
.LBB14_1527:
	s_mov_b32 s2, 0
.LBB14_1528:
	s_delay_alu instid0(SALU_CYCLE_1)
	s_and_not1_b32 vcc_lo, exec_lo, s2
	s_cbranch_vccnz .LBB14_1539
; %bb.1529:
	s_cmp_lt_i32 s0, 6
	s_cbranch_scc1 .LBB14_1532
; %bb.1530:
	s_cmp_gt_i32 s0, 6
	s_cbranch_scc0 .LBB14_1533
; %bb.1531:
	global_load_b64 v[10:11], v[0:1], off
	s_mov_b32 s2, 0
	s_wait_loadcnt 0x0
	v_cvt_f32_f64_e32 v3, v[10:11]
	s_branch .LBB14_1534
.LBB14_1532:
	s_mov_b32 s2, -1
                                        ; implicit-def: $vgpr3
	s_branch .LBB14_1537
.LBB14_1533:
	s_mov_b32 s2, -1
                                        ; implicit-def: $vgpr3
.LBB14_1534:
	s_delay_alu instid0(SALU_CYCLE_1)
	s_and_not1_b32 vcc_lo, exec_lo, s2
	s_cbranch_vccnz .LBB14_1536
; %bb.1535:
	s_wait_loadcnt 0x0
	global_load_b32 v3, v[0:1], off
.LBB14_1536:
	s_mov_b32 s2, 0
.LBB14_1537:
	s_delay_alu instid0(SALU_CYCLE_1)
	s_and_not1_b32 vcc_lo, exec_lo, s2
	s_cbranch_vccnz .LBB14_1539
; %bb.1538:
	s_wait_loadcnt 0x0
	global_load_u16 v3, v[0:1], off
	s_wait_loadcnt 0x0
	v_cvt_f32_f16_e32 v3, v3
.LBB14_1539:
	s_mov_b32 s2, 0
.LBB14_1540:
	s_delay_alu instid0(SALU_CYCLE_1)
	s_and_not1_b32 vcc_lo, exec_lo, s2
	s_cbranch_vccnz .LBB14_1560
; %bb.1541:
	s_cmp_lt_i32 s0, 2
	s_cbranch_scc1 .LBB14_1545
; %bb.1542:
	s_cmp_lt_i32 s0, 3
	s_cbranch_scc1 .LBB14_1546
; %bb.1543:
	s_cmp_gt_i32 s0, 3
	s_cbranch_scc0 .LBB14_1547
; %bb.1544:
	global_load_b64 v[10:11], v[0:1], off
	s_mov_b32 s2, 0
	s_wait_loadcnt 0x0
	v_xor_b32_e32 v3, v10, v11
	v_cls_i32_e32 v5, v11
	s_delay_alu instid0(VALU_DEP_2) | instskip(NEXT) | instid1(VALU_DEP_1)
	v_ashrrev_i32_e32 v3, 31, v3
	v_add_nc_u32_e32 v3, 32, v3
	s_delay_alu instid0(VALU_DEP_1) | instskip(NEXT) | instid1(VALU_DEP_1)
	v_add_min_u32_e64 v3, v5, -1, v3
	v_lshlrev_b64_e32 v[10:11], v3, v[10:11]
	v_sub_nc_u32_e32 v3, 32, v3
	s_delay_alu instid0(VALU_DEP_2) | instskip(NEXT) | instid1(VALU_DEP_1)
	v_min_u32_e32 v5, 1, v10
	v_or_b32_e32 v5, v11, v5
	s_delay_alu instid0(VALU_DEP_1) | instskip(NEXT) | instid1(VALU_DEP_1)
	v_cvt_f32_i32_e32 v5, v5
	v_ldexp_f32 v3, v5, v3
	s_branch .LBB14_1548
.LBB14_1545:
	s_mov_b32 s2, -1
                                        ; implicit-def: $vgpr3
	s_branch .LBB14_1554
.LBB14_1546:
	s_mov_b32 s2, -1
                                        ; implicit-def: $vgpr3
	s_branch .LBB14_1551
.LBB14_1547:
	s_mov_b32 s2, -1
                                        ; implicit-def: $vgpr3
.LBB14_1548:
	s_delay_alu instid0(SALU_CYCLE_1)
	s_and_not1_b32 vcc_lo, exec_lo, s2
	s_cbranch_vccnz .LBB14_1550
; %bb.1549:
	s_wait_loadcnt 0x0
	global_load_b32 v3, v[0:1], off
	s_wait_loadcnt 0x0
	v_cvt_f32_i32_e32 v3, v3
.LBB14_1550:
	s_mov_b32 s2, 0
.LBB14_1551:
	s_delay_alu instid0(SALU_CYCLE_1)
	s_and_not1_b32 vcc_lo, exec_lo, s2
	s_cbranch_vccnz .LBB14_1553
; %bb.1552:
	s_wait_loadcnt 0x0
	global_load_i16 v3, v[0:1], off
	s_wait_loadcnt 0x0
	v_cvt_f32_i32_e32 v3, v3
.LBB14_1553:
	s_mov_b32 s2, 0
.LBB14_1554:
	s_delay_alu instid0(SALU_CYCLE_1)
	s_and_not1_b32 vcc_lo, exec_lo, s2
	s_cbranch_vccnz .LBB14_1560
; %bb.1555:
	s_cmp_gt_i32 s0, 0
	s_mov_b32 s0, 0
	s_cbranch_scc0 .LBB14_1557
; %bb.1556:
	s_wait_loadcnt 0x0
	global_load_i8 v3, v[0:1], off
	s_wait_loadcnt 0x0
	v_cvt_f32_i32_e32 v3, v3
	s_branch .LBB14_1558
.LBB14_1557:
	s_mov_b32 s0, -1
                                        ; implicit-def: $vgpr3
.LBB14_1558:
	s_delay_alu instid0(SALU_CYCLE_1)
	s_and_not1_b32 vcc_lo, exec_lo, s0
	s_cbranch_vccnz .LBB14_1560
; %bb.1559:
	global_load_u8 v0, v[0:1], off
	s_wait_loadcnt 0x0
	v_cvt_f32_ubyte0_e32 v3, v0
.LBB14_1560:
	s_mov_b32 s7, -1
.LBB14_1561:
	s_delay_alu instid0(SALU_CYCLE_1)
	s_and_not1_b32 vcc_lo, exec_lo, s7
	s_cbranch_vccnz .LBB14_1642
; %bb.1562:
	s_wait_xcnt 0x0
	v_mov_b32_e32 v0, 1.0
	s_mov_b32 s0, exec_lo
	s_wait_loadcnt 0x0
	s_delay_alu instid0(VALU_DEP_2)
	v_cmpx_lt_f32_e32 s10, v3
	s_cbranch_execz .LBB14_1564
; %bb.1563:
	v_add_f32_e32 v0, 0x33d6bf95, v3
	s_delay_alu instid0(VALU_DEP_1) | instskip(NEXT) | instid1(VALU_DEP_1)
	v_div_scale_f32 v1, null, v0, v0, s10
	v_rcp_f32_e32 v3, v1
	v_nop
	s_delay_alu instid0(TRANS32_DEP_1) | instskip(NEXT) | instid1(VALU_DEP_1)
	v_fma_f32 v5, -v1, v3, 1.0
	v_fmac_f32_e32 v3, v5, v3
	v_div_scale_f32 v5, vcc_lo, s10, v0, s10
	s_delay_alu instid0(VALU_DEP_1) | instskip(NEXT) | instid1(VALU_DEP_1)
	v_mul_f32_e32 v7, v5, v3
	v_fma_f32 v9, -v1, v7, v5
	s_delay_alu instid0(VALU_DEP_1) | instskip(NEXT) | instid1(VALU_DEP_1)
	v_fmac_f32_e32 v7, v9, v3
	v_fma_f32 v1, -v1, v7, v5
	s_delay_alu instid0(VALU_DEP_1) | instskip(NEXT) | instid1(VALU_DEP_1)
	v_div_fmas_f32 v1, v1, v3, v7
	v_div_fixup_f32 v0, v1, v0, s10
.LBB14_1564:
	s_or_b32 exec_lo, exec_lo, s0
	v_mul_lo_u32 v8, s8, v8
	s_and_b32 s13, s11, 0xff
	s_delay_alu instid0(SALU_CYCLE_1) | instskip(NEXT) | instid1(VALU_DEP_1)
	s_cmp_lt_i32 s13, 11
	v_ashrrev_i32_e32 v9, 31, v8
	s_delay_alu instid0(VALU_DEP_1)
	v_add_nc_u64_e32 v[10:11], s[4:5], v[8:9]
	s_cbranch_scc1 .LBB14_1687
; %bb.1565:
	s_and_b32 s2, 0xffff, s13
	s_mov_b32 s9, -1
	s_mov_b32 s6, 0
	s_cmp_gt_i32 s2, 25
	s_mov_b32 s7, 0
	s_mov_b32 s0, 0
	s_cbranch_scc0 .LBB14_1598
; %bb.1566:
	s_cmp_gt_i32 s2, 28
	s_cbranch_scc0 .LBB14_1581
; %bb.1567:
	s_cmp_gt_i32 s2, 43
	;; [unrolled: 3-line block ×3, first 2 shown]
	s_cbranch_scc0 .LBB14_1571
; %bb.1569:
	s_mov_b32 s0, -1
	s_mov_b32 s9, 0
	s_cmp_eq_u32 s2, 46
	s_cbranch_scc0 .LBB14_1571
; %bb.1570:
	v_bfe_u32 v1, v2, 16, 1
	v_cmp_o_f32_e32 vcc_lo, v2, v2
	s_mov_b32 s0, 0
	s_mov_b32 s7, -1
	s_delay_alu instid0(VALU_DEP_2) | instskip(NEXT) | instid1(VALU_DEP_1)
	v_add3_u32 v1, v2, v1, 0x7fff
	v_lshrrev_b32_e32 v1, 16, v1
	s_delay_alu instid0(VALU_DEP_1)
	v_cndmask_b32_e32 v1, 0x7fc0, v1, vcc_lo
	global_store_b32 v[10:11], v1, off
.LBB14_1571:
	s_and_b32 vcc_lo, exec_lo, s9
	s_cbranch_vccz .LBB14_1576
; %bb.1572:
	s_cmp_eq_u32 s2, 44
	s_mov_b32 s0, -1
	s_cbranch_scc0 .LBB14_1576
; %bb.1573:
	v_bfe_u32 v3, v2, 23, 8
	s_wait_xcnt 0x0
	v_mov_b32_e32 v1, 0xff
	s_mov_b32 s7, exec_lo
	s_delay_alu instid0(VALU_DEP_2)
	v_cmpx_ne_u32_e32 0xff, v3
	s_cbranch_execz .LBB14_1575
; %bb.1574:
	v_and_b32_e32 v1, 0x400000, v2
	v_and_or_b32 v3, 0x3fffff, v2, v3
	s_delay_alu instid0(VALU_DEP_2) | instskip(NEXT) | instid1(VALU_DEP_2)
	v_cmp_ne_u32_e32 vcc_lo, 0, v1
	v_cmp_ne_u32_e64 s0, 0, v3
	v_lshrrev_b32_e32 v1, 23, v2
	s_and_b32 s0, vcc_lo, s0
	s_delay_alu instid0(SALU_CYCLE_1) | instskip(NEXT) | instid1(VALU_DEP_1)
	v_cndmask_b32_e64 v3, 0, 1, s0
	v_add_nc_u32_e32 v1, v1, v3
.LBB14_1575:
	s_or_b32 exec_lo, exec_lo, s7
	s_mov_b32 s0, 0
	s_mov_b32 s7, -1
	global_store_b8 v[10:11], v1, off
.LBB14_1576:
	s_mov_b32 s9, 0
.LBB14_1577:
	s_delay_alu instid0(SALU_CYCLE_1)
	s_and_b32 vcc_lo, exec_lo, s9
	s_cbranch_vccz .LBB14_1580
; %bb.1578:
	s_cmp_eq_u32 s2, 29
	s_mov_b32 s0, -1
	s_cbranch_scc0 .LBB14_1580
; %bb.1579:
	s_wait_xcnt 0x0
	v_trunc_f32_e32 v1, v2
	s_mov_b32 s0, 0
	s_mov_b32 s7, -1
	s_delay_alu instid0(VALU_DEP_1) | instskip(NEXT) | instid1(VALU_DEP_1)
	v_mul_f32_e32 v3, 0x2f800000, v1
	v_floor_f32_e32 v3, v3
	s_delay_alu instid0(VALU_DEP_1) | instskip(SKIP_1) | instid1(VALU_DEP_2)
	v_fmamk_f32 v1, v3, 0xcf800000, v1
	v_cvt_u32_f32_e32 v13, v3
	v_cvt_u32_f32_e32 v12, v1
	global_store_b64 v[10:11], v[12:13], off
.LBB14_1580:
	s_mov_b32 s9, 0
.LBB14_1581:
	s_delay_alu instid0(SALU_CYCLE_1)
	s_and_b32 vcc_lo, exec_lo, s9
	s_cbranch_vccz .LBB14_1597
; %bb.1582:
	s_cmp_lt_i32 s2, 27
	s_mov_b32 s7, -1
	s_cbranch_scc1 .LBB14_1588
; %bb.1583:
	s_wait_xcnt 0x0
	v_cvt_u32_f32_e32 v1, v2
	s_cmp_gt_i32 s2, 27
	s_cbranch_scc0 .LBB14_1585
; %bb.1584:
	s_mov_b32 s7, 0
	global_store_b32 v[10:11], v1, off
.LBB14_1585:
	s_and_not1_b32 vcc_lo, exec_lo, s7
	s_cbranch_vccnz .LBB14_1587
; %bb.1586:
	global_store_b16 v[10:11], v1, off
.LBB14_1587:
	s_mov_b32 s7, 0
.LBB14_1588:
	s_delay_alu instid0(SALU_CYCLE_1)
	s_and_not1_b32 vcc_lo, exec_lo, s7
	s_cbranch_vccnz .LBB14_1596
; %bb.1589:
	s_wait_xcnt 0x0
	v_and_b32_e32 v1, 0x7fffffff, v2
	v_mov_b32_e32 v3, 0x80
	s_mov_b32 s7, exec_lo
	s_delay_alu instid0(VALU_DEP_2)
	v_cmpx_gt_u32_e32 0x43800000, v1
	s_cbranch_execz .LBB14_1595
; %bb.1590:
	v_cmp_lt_u32_e32 vcc_lo, 0x3bffffff, v1
	s_mov_b32 s9, 0
                                        ; implicit-def: $vgpr1
	s_and_saveexec_b32 s10, vcc_lo
	s_delay_alu instid0(SALU_CYCLE_1)
	s_xor_b32 s10, exec_lo, s10
	s_cbranch_execz .LBB14_2045
; %bb.1591:
	v_bfe_u32 v1, v2, 20, 1
	s_mov_b32 s9, exec_lo
	s_delay_alu instid0(VALU_DEP_1) | instskip(NEXT) | instid1(VALU_DEP_1)
	v_add3_u32 v1, v2, v1, 0x487ffff
	v_lshrrev_b32_e32 v1, 20, v1
	s_and_not1_saveexec_b32 s10, s10
	s_cbranch_execnz .LBB14_2046
.LBB14_1592:
	s_or_b32 exec_lo, exec_lo, s10
	v_mov_b32_e32 v3, 0
	s_and_saveexec_b32 s10, s9
.LBB14_1593:
	v_lshrrev_b32_e32 v3, 24, v2
	s_delay_alu instid0(VALU_DEP_1)
	v_and_or_b32 v3, 0x80, v3, v1
.LBB14_1594:
	s_or_b32 exec_lo, exec_lo, s10
.LBB14_1595:
	s_delay_alu instid0(SALU_CYCLE_1)
	s_or_b32 exec_lo, exec_lo, s7
	global_store_b8 v[10:11], v3, off
.LBB14_1596:
	s_mov_b32 s7, -1
.LBB14_1597:
	s_mov_b32 s9, 0
.LBB14_1598:
	s_delay_alu instid0(SALU_CYCLE_1)
	s_and_b32 vcc_lo, exec_lo, s9
	s_cbranch_vccz .LBB14_1638
; %bb.1599:
	s_cmp_gt_i32 s2, 22
	s_mov_b32 s6, -1
	s_cbranch_scc0 .LBB14_1631
; %bb.1600:
	s_cmp_lt_i32 s2, 24
	s_cbranch_scc1 .LBB14_1620
; %bb.1601:
	s_cmp_gt_i32 s2, 24
	s_cbranch_scc0 .LBB14_1609
; %bb.1602:
	s_wait_xcnt 0x0
	v_and_b32_e32 v1, 0x7fffffff, v2
	v_mov_b32_e32 v3, 0x80
	s_mov_b32 s6, exec_lo
	s_delay_alu instid0(VALU_DEP_2)
	v_cmpx_gt_u32_e32 0x47800000, v1
	s_cbranch_execz .LBB14_1608
; %bb.1603:
	v_cmp_lt_u32_e32 vcc_lo, 0x37ffffff, v1
	s_mov_b32 s7, 0
                                        ; implicit-def: $vgpr1
	s_and_saveexec_b32 s9, vcc_lo
	s_delay_alu instid0(SALU_CYCLE_1)
	s_xor_b32 s9, exec_lo, s9
	s_cbranch_execz .LBB14_2048
; %bb.1604:
	v_bfe_u32 v1, v2, 21, 1
	s_mov_b32 s7, exec_lo
	s_delay_alu instid0(VALU_DEP_1) | instskip(NEXT) | instid1(VALU_DEP_1)
	v_add3_u32 v1, v2, v1, 0x88fffff
	v_lshrrev_b32_e32 v1, 21, v1
	s_and_not1_saveexec_b32 s9, s9
	s_cbranch_execnz .LBB14_2049
.LBB14_1605:
	s_or_b32 exec_lo, exec_lo, s9
	v_mov_b32_e32 v3, 0
	s_and_saveexec_b32 s9, s7
.LBB14_1606:
	v_lshrrev_b32_e32 v3, 24, v2
	s_delay_alu instid0(VALU_DEP_1)
	v_and_or_b32 v3, 0x80, v3, v1
.LBB14_1607:
	s_or_b32 exec_lo, exec_lo, s9
.LBB14_1608:
	s_delay_alu instid0(SALU_CYCLE_1)
	s_or_b32 exec_lo, exec_lo, s6
	s_mov_b32 s6, 0
	global_store_b8 v[10:11], v3, off
.LBB14_1609:
	s_and_b32 vcc_lo, exec_lo, s6
	s_cbranch_vccz .LBB14_1619
; %bb.1610:
	s_wait_xcnt 0x0
	v_and_b32_e32 v3, 0x7fffffff, v2
	s_mov_b32 s6, exec_lo
                                        ; implicit-def: $vgpr1
	s_delay_alu instid0(VALU_DEP_1)
	v_cmpx_gt_u32_e32 0x43f00000, v3
	s_xor_b32 s6, exec_lo, s6
	s_cbranch_execz .LBB14_1616
; %bb.1611:
	s_mov_b32 s7, exec_lo
                                        ; implicit-def: $vgpr1
	v_cmpx_lt_u32_e32 0x3c7fffff, v3
	s_xor_b32 s7, exec_lo, s7
; %bb.1612:
	v_bfe_u32 v1, v2, 20, 1
	s_delay_alu instid0(VALU_DEP_1) | instskip(NEXT) | instid1(VALU_DEP_1)
	v_add3_u32 v1, v2, v1, 0x407ffff
	v_and_b32_e32 v3, 0xff00000, v1
	v_lshrrev_b32_e32 v1, 20, v1
	s_delay_alu instid0(VALU_DEP_2) | instskip(NEXT) | instid1(VALU_DEP_2)
	v_cmp_ne_u32_e32 vcc_lo, 0x7f00000, v3
	v_cndmask_b32_e32 v1, 0x7e, v1, vcc_lo
; %bb.1613:
	s_and_not1_saveexec_b32 s7, s7
; %bb.1614:
	v_add_f32_e64 v1, 0x46800000, |v2|
; %bb.1615:
	s_or_b32 exec_lo, exec_lo, s7
                                        ; implicit-def: $vgpr3
.LBB14_1616:
	s_and_not1_saveexec_b32 s6, s6
; %bb.1617:
	v_mov_b32_e32 v1, 0x7f
	v_cmp_lt_u32_e32 vcc_lo, 0x7f800000, v3
	s_delay_alu instid0(VALU_DEP_2)
	v_cndmask_b32_e32 v1, 0x7e, v1, vcc_lo
; %bb.1618:
	s_or_b32 exec_lo, exec_lo, s6
	v_lshrrev_b32_e32 v3, 24, v2
	s_delay_alu instid0(VALU_DEP_1)
	v_and_or_b32 v1, 0x80, v3, v1
	global_store_b8 v[10:11], v1, off
.LBB14_1619:
	s_mov_b32 s6, 0
.LBB14_1620:
	s_delay_alu instid0(SALU_CYCLE_1)
	s_and_not1_b32 vcc_lo, exec_lo, s6
	s_cbranch_vccnz .LBB14_1630
; %bb.1621:
	s_wait_xcnt 0x0
	v_and_b32_e32 v3, 0x7fffffff, v2
	s_mov_b32 s6, exec_lo
                                        ; implicit-def: $vgpr1
	s_delay_alu instid0(VALU_DEP_1)
	v_cmpx_gt_u32_e32 0x47800000, v3
	s_xor_b32 s6, exec_lo, s6
	s_cbranch_execz .LBB14_1627
; %bb.1622:
	s_mov_b32 s7, exec_lo
                                        ; implicit-def: $vgpr1
	v_cmpx_lt_u32_e32 0x387fffff, v3
	s_xor_b32 s7, exec_lo, s7
; %bb.1623:
	v_bfe_u32 v1, v2, 21, 1
	s_delay_alu instid0(VALU_DEP_1) | instskip(NEXT) | instid1(VALU_DEP_1)
	v_add3_u32 v1, v2, v1, 0x80fffff
	v_lshrrev_b32_e32 v1, 21, v1
; %bb.1624:
	s_and_not1_saveexec_b32 s7, s7
; %bb.1625:
	v_add_f32_e64 v1, 0x43000000, |v2|
; %bb.1626:
	s_or_b32 exec_lo, exec_lo, s7
                                        ; implicit-def: $vgpr3
.LBB14_1627:
	s_and_not1_saveexec_b32 s6, s6
; %bb.1628:
	v_mov_b32_e32 v1, 0x7f
	v_cmp_lt_u32_e32 vcc_lo, 0x7f800000, v3
	s_delay_alu instid0(VALU_DEP_2)
	v_cndmask_b32_e32 v1, 0x7c, v1, vcc_lo
; %bb.1629:
	s_or_b32 exec_lo, exec_lo, s6
	v_lshrrev_b32_e32 v3, 24, v2
	s_delay_alu instid0(VALU_DEP_1)
	v_and_or_b32 v1, 0x80, v3, v1
	global_store_b8 v[10:11], v1, off
.LBB14_1630:
	s_mov_b32 s6, 0
	s_mov_b32 s7, -1
.LBB14_1631:
	s_and_not1_b32 vcc_lo, exec_lo, s6
	s_mov_b32 s6, 0
	s_cbranch_vccnz .LBB14_1638
; %bb.1632:
	s_cmp_gt_i32 s2, 14
	s_mov_b32 s6, -1
	s_cbranch_scc0 .LBB14_1636
; %bb.1633:
	s_cmp_eq_u32 s2, 15
	s_mov_b32 s0, -1
	s_cbranch_scc0 .LBB14_1635
; %bb.1634:
	s_wait_xcnt 0x0
	v_bfe_u32 v1, v2, 16, 1
	v_cmp_o_f32_e32 vcc_lo, v2, v2
	s_mov_b32 s0, 0
	s_mov_b32 s7, -1
	s_delay_alu instid0(VALU_DEP_2) | instskip(NEXT) | instid1(VALU_DEP_1)
	v_add3_u32 v1, v2, v1, 0x7fff
	v_lshrrev_b32_e32 v1, 16, v1
	s_delay_alu instid0(VALU_DEP_1)
	v_cndmask_b32_e32 v1, 0x7fc0, v1, vcc_lo
	global_store_b16 v[10:11], v1, off
.LBB14_1635:
	s_mov_b32 s6, 0
.LBB14_1636:
	s_delay_alu instid0(SALU_CYCLE_1)
	s_and_b32 vcc_lo, exec_lo, s6
	s_mov_b32 s6, 0
	s_cbranch_vccz .LBB14_1638
; %bb.1637:
	s_cmp_lg_u32 s2, 11
	s_mov_b32 s6, -1
	s_cselect_b32 s0, -1, 0
.LBB14_1638:
	s_delay_alu instid0(SALU_CYCLE_1)
	s_and_b32 vcc_lo, exec_lo, s0
	s_cbranch_vccnz .LBB14_2047
; %bb.1639:
	s_and_not1_b32 vcc_lo, exec_lo, s6
	s_cbranch_vccnz .LBB14_1641
.LBB14_1640:
	v_cmp_neq_f32_e32 vcc_lo, 0, v2
	s_mov_b32 s7, -1
	s_wait_xcnt 0x0
	v_cndmask_b32_e64 v1, 0, 1, vcc_lo
	global_store_b8 v[10:11], v1, off
.LBB14_1641:
	s_mov_b32 s0, 0
	s_branch .LBB14_1688
.LBB14_1642:
	s_mov_b32 s0, 0
	s_mov_b32 s4, 0
                                        ; implicit-def: $sgpr13
                                        ; implicit-def: $vgpr2_vgpr3
                                        ; implicit-def: $vgpr0
.LBB14_1643:
	s_and_not1_b32 s2, s12, exec_lo
	s_and_b32 s5, s1, exec_lo
	s_and_b32 s0, s0, exec_lo
	;; [unrolled: 1-line block ×3, first 2 shown]
	s_or_b32 s12, s2, s5
.LBB14_1644:
	s_wait_xcnt 0x0
	s_or_b32 exec_lo, exec_lo, s3
	s_and_saveexec_b32 s2, s12
	s_cbranch_execz .LBB14_1647
; %bb.1645:
	; divergent unreachable
	s_or_b32 exec_lo, exec_lo, s2
	s_and_saveexec_b32 s2, s1
	s_delay_alu instid0(SALU_CYCLE_1)
	s_xor_b32 s1, exec_lo, s2
	s_cbranch_execnz .LBB14_1648
.LBB14_1646:
	s_or_b32 exec_lo, exec_lo, s1
	s_and_saveexec_b32 s1, s0
	s_cbranch_execnz .LBB14_1649
	s_branch .LBB14_1686
.LBB14_1647:
	s_or_b32 exec_lo, exec_lo, s2
	s_and_saveexec_b32 s2, s1
	s_delay_alu instid0(SALU_CYCLE_1)
	s_xor_b32 s1, exec_lo, s2
	s_cbranch_execz .LBB14_1646
.LBB14_1648:
	v_cmp_neq_f32_e32 vcc_lo, 0, v0
	s_wait_loadcnt 0x0
	v_cndmask_b32_e64 v1, 0, 1, vcc_lo
	global_store_b8 v[2:3], v1, off
	s_wait_xcnt 0x0
	s_or_b32 exec_lo, exec_lo, s1
	s_and_saveexec_b32 s1, s0
	s_cbranch_execz .LBB14_1686
.LBB14_1649:
	s_sext_i32_i16 s1, s13
	s_mov_b32 s0, -1
	s_cmp_lt_i32 s1, 5
	s_cbranch_scc1 .LBB14_1670
; %bb.1650:
	s_cmp_lt_i32 s1, 8
	s_cbranch_scc1 .LBB14_1660
; %bb.1651:
	;; [unrolled: 3-line block ×3, first 2 shown]
	s_cmp_gt_i32 s1, 9
	s_cbranch_scc0 .LBB14_1654
; %bb.1653:
	s_wait_loadcnt 0x0
	v_cvt_f64_f32_e32 v[4:5], v0
	v_mov_b32_e32 v6, 0
	s_mov_b32 s0, 0
	s_delay_alu instid0(VALU_DEP_1)
	v_mov_b32_e32 v7, v6
	global_store_b128 v[2:3], v[4:7], off
.LBB14_1654:
	s_and_not1_b32 vcc_lo, exec_lo, s0
	s_cbranch_vccnz .LBB14_1656
; %bb.1655:
	s_wait_loadcnt 0x0
	v_mov_b32_e32 v1, 0
	global_store_b64 v[2:3], v[0:1], off
.LBB14_1656:
	s_mov_b32 s0, 0
.LBB14_1657:
	s_delay_alu instid0(SALU_CYCLE_1)
	s_and_not1_b32 vcc_lo, exec_lo, s0
	s_cbranch_vccnz .LBB14_1659
; %bb.1658:
	s_wait_loadcnt 0x0
	v_cvt_f16_f32_e32 v1, v0
	s_delay_alu instid0(VALU_DEP_1)
	v_and_b32_e32 v1, 0xffff, v1
	global_store_b32 v[2:3], v1, off
.LBB14_1659:
	s_mov_b32 s0, 0
.LBB14_1660:
	s_delay_alu instid0(SALU_CYCLE_1)
	s_and_not1_b32 vcc_lo, exec_lo, s0
	s_cbranch_vccnz .LBB14_1669
; %bb.1661:
	s_sext_i32_i16 s1, s13
	s_mov_b32 s0, -1
	s_cmp_lt_i32 s1, 6
	s_cbranch_scc1 .LBB14_1667
; %bb.1662:
	s_cmp_gt_i32 s1, 6
	s_cbranch_scc0 .LBB14_1664
; %bb.1663:
	s_wait_loadcnt 0x0
	v_cvt_f64_f32_e32 v[4:5], v0
	s_mov_b32 s0, 0
	global_store_b64 v[2:3], v[4:5], off
.LBB14_1664:
	s_and_not1_b32 vcc_lo, exec_lo, s0
	s_cbranch_vccnz .LBB14_1666
; %bb.1665:
	s_wait_loadcnt 0x0
	global_store_b32 v[2:3], v0, off
.LBB14_1666:
	s_mov_b32 s0, 0
.LBB14_1667:
	s_delay_alu instid0(SALU_CYCLE_1)
	s_and_not1_b32 vcc_lo, exec_lo, s0
	s_cbranch_vccnz .LBB14_1669
; %bb.1668:
	s_wait_loadcnt 0x0
	v_cvt_f16_f32_e32 v1, v0
	global_store_b16 v[2:3], v1, off
.LBB14_1669:
	s_mov_b32 s0, 0
.LBB14_1670:
	s_delay_alu instid0(SALU_CYCLE_1)
	s_and_not1_b32 vcc_lo, exec_lo, s0
	s_cbranch_vccnz .LBB14_1686
; %bb.1671:
	s_sext_i32_i16 s1, s13
	s_mov_b32 s0, -1
	s_cmp_lt_i32 s1, 2
	s_cbranch_scc1 .LBB14_1681
; %bb.1672:
	s_cmp_lt_i32 s1, 3
	s_cbranch_scc1 .LBB14_1678
; %bb.1673:
	s_cmp_gt_i32 s1, 3
	s_cbranch_scc0 .LBB14_1675
; %bb.1674:
	s_wait_loadcnt 0x0
	v_trunc_f32_e32 v1, v0
	s_mov_b32 s0, 0
	s_delay_alu instid0(VALU_DEP_1) | instskip(NEXT) | instid1(VALU_DEP_1)
	v_mul_f32_e64 v4, 0x2f800000, |v1|
	v_floor_f32_e32 v5, v4
	v_ashrrev_i32_e32 v4, 31, v1
	s_delay_alu instid0(VALU_DEP_2) | instskip(SKIP_1) | instid1(VALU_DEP_3)
	v_fma_f32 v6, 0xcf800000, v5, |v1|
	v_cvt_u32_f32_e32 v1, v5
	v_mov_b32_e32 v5, v4
	s_delay_alu instid0(VALU_DEP_3) | instskip(NEXT) | instid1(VALU_DEP_3)
	v_cvt_u32_f32_e32 v6, v6
	v_xor_b32_e32 v7, v1, v4
	s_delay_alu instid0(VALU_DEP_2) | instskip(NEXT) | instid1(VALU_DEP_1)
	v_xor_b32_e32 v6, v6, v4
	v_sub_nc_u64_e32 v[4:5], v[6:7], v[4:5]
	global_store_b64 v[2:3], v[4:5], off
.LBB14_1675:
	s_and_not1_b32 vcc_lo, exec_lo, s0
	s_cbranch_vccnz .LBB14_1677
; %bb.1676:
	s_wait_loadcnt 0x0
	v_cvt_i32_f32_e32 v1, v0
	global_store_b32 v[2:3], v1, off
.LBB14_1677:
	s_mov_b32 s0, 0
.LBB14_1678:
	s_delay_alu instid0(SALU_CYCLE_1)
	s_and_not1_b32 vcc_lo, exec_lo, s0
	s_cbranch_vccnz .LBB14_1680
; %bb.1679:
	s_wait_loadcnt 0x0
	v_cvt_i32_f32_e32 v1, v0
	global_store_b16 v[2:3], v1, off
.LBB14_1680:
	s_mov_b32 s0, 0
.LBB14_1681:
	s_delay_alu instid0(SALU_CYCLE_1)
	s_and_not1_b32 vcc_lo, exec_lo, s0
	s_cbranch_vccnz .LBB14_1686
; %bb.1682:
	s_sext_i32_i16 s0, s13
	s_delay_alu instid0(SALU_CYCLE_1)
	s_cmp_gt_i32 s0, 0
	s_mov_b32 s0, -1
	s_cbranch_scc0 .LBB14_1684
; %bb.1683:
	s_wait_loadcnt 0x0
	v_cvt_i32_f32_e32 v1, v0
	s_mov_b32 s0, 0
	global_store_b8 v[2:3], v1, off
.LBB14_1684:
	s_and_not1_b32 vcc_lo, exec_lo, s0
	s_cbranch_vccnz .LBB14_1686
; %bb.1685:
	s_wait_xcnt 0x0
	v_trunc_f32_e32 v0, v0
	s_wait_loadcnt 0x0
	s_delay_alu instid0(VALU_DEP_1) | instskip(NEXT) | instid1(VALU_DEP_1)
	v_mul_f32_e64 v1, 0x2f800000, |v0|
	v_floor_f32_e32 v1, v1
	s_delay_alu instid0(VALU_DEP_1) | instskip(SKIP_1) | instid1(VALU_DEP_2)
	v_fma_f32 v1, 0xcf800000, v1, |v0|
	v_ashrrev_i32_e32 v0, 31, v0
	v_cvt_u32_f32_e32 v1, v1
	s_delay_alu instid0(VALU_DEP_1) | instskip(NEXT) | instid1(VALU_DEP_1)
	v_xor_b32_e32 v1, v1, v0
	v_sub_nc_u32_e32 v0, v1, v0
	global_store_b8 v[2:3], v0, off
	s_endpgm
.LBB14_1686:
	s_endpgm
.LBB14_1687:
	s_mov_b32 s0, -1
	s_mov_b32 s7, 0
.LBB14_1688:
	s_and_b32 vcc_lo, exec_lo, s0
	s_cbranch_vccz .LBB14_1727
; %bb.1689:
	s_and_b32 s0, 0xffff, s13
	s_mov_b32 s2, -1
	s_cmp_lt_i32 s0, 5
	s_cbranch_scc1 .LBB14_1710
; %bb.1690:
	s_cmp_lt_i32 s0, 8
	s_cbranch_scc1 .LBB14_1700
; %bb.1691:
	;; [unrolled: 3-line block ×3, first 2 shown]
	s_cmp_gt_i32 s0, 9
	s_cbranch_scc0 .LBB14_1694
; %bb.1693:
	s_wait_xcnt 0x0
	v_cvt_f64_f32_e32 v[12:13], v2
	v_mov_b32_e32 v14, 0
	s_mov_b32 s2, 0
	s_delay_alu instid0(VALU_DEP_1)
	v_mov_b32_e32 v15, v14
	global_store_b128 v[10:11], v[12:15], off
.LBB14_1694:
	s_and_not1_b32 vcc_lo, exec_lo, s2
	s_cbranch_vccnz .LBB14_1696
; %bb.1695:
	s_wait_xcnt 0x0
	v_mov_b32_e32 v3, 0
	global_store_b64 v[10:11], v[2:3], off
.LBB14_1696:
	s_mov_b32 s2, 0
.LBB14_1697:
	s_delay_alu instid0(SALU_CYCLE_1)
	s_and_not1_b32 vcc_lo, exec_lo, s2
	s_cbranch_vccnz .LBB14_1699
; %bb.1698:
	s_wait_xcnt 0x0
	v_cvt_f16_f32_e32 v1, v2
	s_delay_alu instid0(VALU_DEP_1)
	v_and_b32_e32 v1, 0xffff, v1
	global_store_b32 v[10:11], v1, off
.LBB14_1699:
	s_mov_b32 s2, 0
.LBB14_1700:
	s_delay_alu instid0(SALU_CYCLE_1)
	s_and_not1_b32 vcc_lo, exec_lo, s2
	s_cbranch_vccnz .LBB14_1709
; %bb.1701:
	s_cmp_lt_i32 s0, 6
	s_mov_b32 s2, -1
	s_cbranch_scc1 .LBB14_1707
; %bb.1702:
	s_cmp_gt_i32 s0, 6
	s_cbranch_scc0 .LBB14_1704
; %bb.1703:
	s_wait_xcnt 0x0
	v_cvt_f64_f32_e32 v[12:13], v2
	s_mov_b32 s2, 0
	global_store_b64 v[10:11], v[12:13], off
.LBB14_1704:
	s_and_not1_b32 vcc_lo, exec_lo, s2
	s_cbranch_vccnz .LBB14_1706
; %bb.1705:
	global_store_b32 v[10:11], v2, off
.LBB14_1706:
	s_mov_b32 s2, 0
.LBB14_1707:
	s_delay_alu instid0(SALU_CYCLE_1)
	s_and_not1_b32 vcc_lo, exec_lo, s2
	s_cbranch_vccnz .LBB14_1709
; %bb.1708:
	s_wait_xcnt 0x0
	v_cvt_f16_f32_e32 v1, v2
	global_store_b16 v[10:11], v1, off
.LBB14_1709:
	s_mov_b32 s2, 0
.LBB14_1710:
	s_delay_alu instid0(SALU_CYCLE_1)
	s_and_not1_b32 vcc_lo, exec_lo, s2
	s_cbranch_vccnz .LBB14_1726
; %bb.1711:
	s_cmp_lt_i32 s0, 2
	s_mov_b32 s2, -1
	s_cbranch_scc1 .LBB14_1721
; %bb.1712:
	s_cmp_lt_i32 s0, 3
	s_cbranch_scc1 .LBB14_1718
; %bb.1713:
	s_cmp_gt_i32 s0, 3
	s_cbranch_scc0 .LBB14_1715
; %bb.1714:
	s_wait_xcnt 0x0
	v_trunc_f32_e32 v1, v2
	s_mov_b32 s2, 0
	s_delay_alu instid0(VALU_DEP_1) | instskip(SKIP_1) | instid1(VALU_DEP_2)
	v_mul_f32_e64 v3, 0x2f800000, |v1|
	v_ashrrev_i32_e32 v12, 31, v1
	v_floor_f32_e32 v3, v3
	s_delay_alu instid0(VALU_DEP_1) | instskip(SKIP_1) | instid1(VALU_DEP_4)
	v_fma_f32 v5, 0xcf800000, v3, |v1|
	v_cvt_u32_f32_e32 v1, v3
	v_mov_b32_e32 v13, v12
	s_delay_alu instid0(VALU_DEP_3) | instskip(NEXT) | instid1(VALU_DEP_3)
	v_cvt_u32_f32_e32 v3, v5
	v_xor_b32_e32 v15, v1, v12
	s_delay_alu instid0(VALU_DEP_2) | instskip(NEXT) | instid1(VALU_DEP_1)
	v_xor_b32_e32 v14, v3, v12
	v_sub_nc_u64_e32 v[12:13], v[14:15], v[12:13]
	global_store_b64 v[10:11], v[12:13], off
.LBB14_1715:
	s_and_not1_b32 vcc_lo, exec_lo, s2
	s_cbranch_vccnz .LBB14_1717
; %bb.1716:
	s_wait_xcnt 0x0
	v_cvt_i32_f32_e32 v1, v2
	global_store_b32 v[10:11], v1, off
.LBB14_1717:
	s_mov_b32 s2, 0
.LBB14_1718:
	s_delay_alu instid0(SALU_CYCLE_1)
	s_and_not1_b32 vcc_lo, exec_lo, s2
	s_cbranch_vccnz .LBB14_1720
; %bb.1719:
	s_wait_xcnt 0x0
	v_cvt_i32_f32_e32 v1, v2
	global_store_b16 v[10:11], v1, off
.LBB14_1720:
	s_mov_b32 s2, 0
.LBB14_1721:
	s_delay_alu instid0(SALU_CYCLE_1)
	s_and_not1_b32 vcc_lo, exec_lo, s2
	s_cbranch_vccnz .LBB14_1726
; %bb.1722:
	s_cmp_gt_i32 s0, 0
	s_mov_b32 s0, -1
	s_cbranch_scc0 .LBB14_1724
; %bb.1723:
	s_wait_xcnt 0x0
	v_cvt_i32_f32_e32 v1, v2
	s_mov_b32 s0, 0
	global_store_b8 v[10:11], v1, off
.LBB14_1724:
	s_and_not1_b32 vcc_lo, exec_lo, s0
	s_cbranch_vccnz .LBB14_1726
; %bb.1725:
	s_wait_xcnt 0x0
	v_trunc_f32_e32 v1, v2
	s_delay_alu instid0(VALU_DEP_1) | instskip(NEXT) | instid1(VALU_DEP_1)
	v_mul_f32_e64 v2, 0x2f800000, |v1|
	v_floor_f32_e32 v2, v2
	s_delay_alu instid0(VALU_DEP_1) | instskip(SKIP_1) | instid1(VALU_DEP_2)
	v_fma_f32 v2, 0xcf800000, v2, |v1|
	v_ashrrev_i32_e32 v1, 31, v1
	v_cvt_u32_f32_e32 v2, v2
	s_delay_alu instid0(VALU_DEP_1) | instskip(NEXT) | instid1(VALU_DEP_1)
	v_xor_b32_e32 v2, v2, v1
	v_sub_nc_u32_e32 v1, v2, v1
	global_store_b8 v[10:11], v1, off
.LBB14_1726:
	s_mov_b32 s7, -1
.LBB14_1727:
	s_delay_alu instid0(SALU_CYCLE_1)
	s_and_not1_b32 vcc_lo, exec_lo, s7
	s_cbranch_vccnz .LBB14_2042
; %bb.1728:
	s_lshl_b32 s2, s8, 7
	s_cmp_lt_i32 s13, 11
	s_wait_xcnt 0x0
	v_add_nc_u32_e32 v2, s2, v8
	s_delay_alu instid0(VALU_DEP_1) | instskip(NEXT) | instid1(VALU_DEP_1)
	v_ashrrev_i32_e32 v3, 31, v2
	v_add_nc_u64_e32 v[8:9], s[4:5], v[2:3]
	s_cbranch_scc1 .LBB14_1806
; %bb.1729:
	s_and_b32 s6, 0xffff, s13
	s_mov_b32 s9, -1
	s_mov_b32 s7, 0
	s_cmp_gt_i32 s6, 25
	s_mov_b32 s8, 0
	s_mov_b32 s0, 0
	s_cbranch_scc0 .LBB14_1762
; %bb.1730:
	s_cmp_gt_i32 s6, 28
	s_cbranch_scc0 .LBB14_1745
; %bb.1731:
	s_cmp_gt_i32 s6, 43
	;; [unrolled: 3-line block ×3, first 2 shown]
	s_cbranch_scc0 .LBB14_1735
; %bb.1733:
	s_mov_b32 s0, -1
	s_mov_b32 s9, 0
	s_cmp_eq_u32 s6, 46
	s_cbranch_scc0 .LBB14_1735
; %bb.1734:
	v_bfe_u32 v1, v4, 16, 1
	v_cmp_o_f32_e32 vcc_lo, v4, v4
	s_mov_b32 s0, 0
	s_mov_b32 s8, -1
	s_delay_alu instid0(VALU_DEP_2) | instskip(NEXT) | instid1(VALU_DEP_1)
	v_add3_u32 v1, v4, v1, 0x7fff
	v_lshrrev_b32_e32 v1, 16, v1
	s_delay_alu instid0(VALU_DEP_1)
	v_cndmask_b32_e32 v1, 0x7fc0, v1, vcc_lo
	global_store_b32 v[8:9], v1, off
.LBB14_1735:
	s_and_b32 vcc_lo, exec_lo, s9
	s_cbranch_vccz .LBB14_1740
; %bb.1736:
	s_cmp_eq_u32 s6, 44
	s_mov_b32 s0, -1
	s_cbranch_scc0 .LBB14_1740
; %bb.1737:
	v_bfe_u32 v3, v4, 23, 8
	s_wait_xcnt 0x0
	v_mov_b32_e32 v1, 0xff
	s_mov_b32 s8, exec_lo
	s_delay_alu instid0(VALU_DEP_2)
	v_cmpx_ne_u32_e32 0xff, v3
	s_cbranch_execz .LBB14_1739
; %bb.1738:
	v_and_b32_e32 v1, 0x400000, v4
	v_and_or_b32 v3, 0x3fffff, v4, v3
	s_delay_alu instid0(VALU_DEP_2) | instskip(NEXT) | instid1(VALU_DEP_2)
	v_cmp_ne_u32_e32 vcc_lo, 0, v1
	v_cmp_ne_u32_e64 s0, 0, v3
	v_lshrrev_b32_e32 v1, 23, v4
	s_and_b32 s0, vcc_lo, s0
	s_delay_alu instid0(SALU_CYCLE_1) | instskip(NEXT) | instid1(VALU_DEP_1)
	v_cndmask_b32_e64 v3, 0, 1, s0
	v_add_nc_u32_e32 v1, v1, v3
.LBB14_1739:
	s_or_b32 exec_lo, exec_lo, s8
	s_mov_b32 s0, 0
	s_mov_b32 s8, -1
	global_store_b8 v[8:9], v1, off
.LBB14_1740:
	s_mov_b32 s9, 0
.LBB14_1741:
	s_delay_alu instid0(SALU_CYCLE_1)
	s_and_b32 vcc_lo, exec_lo, s9
	s_cbranch_vccz .LBB14_1744
; %bb.1742:
	s_cmp_eq_u32 s6, 29
	s_mov_b32 s0, -1
	s_cbranch_scc0 .LBB14_1744
; %bb.1743:
	s_wait_xcnt 0x0
	v_trunc_f32_e32 v1, v4
	s_mov_b32 s0, 0
	s_mov_b32 s8, -1
	s_delay_alu instid0(VALU_DEP_1) | instskip(NEXT) | instid1(VALU_DEP_1)
	v_mul_f32_e32 v3, 0x2f800000, v1
	v_floor_f32_e32 v3, v3
	s_delay_alu instid0(VALU_DEP_1) | instskip(SKIP_1) | instid1(VALU_DEP_2)
	v_fmamk_f32 v1, v3, 0xcf800000, v1
	v_cvt_u32_f32_e32 v11, v3
	v_cvt_u32_f32_e32 v10, v1
	global_store_b64 v[8:9], v[10:11], off
.LBB14_1744:
	s_mov_b32 s9, 0
.LBB14_1745:
	s_delay_alu instid0(SALU_CYCLE_1)
	s_and_b32 vcc_lo, exec_lo, s9
	s_cbranch_vccz .LBB14_1761
; %bb.1746:
	s_cmp_lt_i32 s6, 27
	s_mov_b32 s8, -1
	s_cbranch_scc1 .LBB14_1752
; %bb.1747:
	s_wait_xcnt 0x0
	v_cvt_u32_f32_e32 v1, v4
	s_cmp_gt_i32 s6, 27
	s_cbranch_scc0 .LBB14_1749
; %bb.1748:
	s_mov_b32 s8, 0
	global_store_b32 v[8:9], v1, off
.LBB14_1749:
	s_and_not1_b32 vcc_lo, exec_lo, s8
	s_cbranch_vccnz .LBB14_1751
; %bb.1750:
	global_store_b16 v[8:9], v1, off
.LBB14_1751:
	s_mov_b32 s8, 0
.LBB14_1752:
	s_delay_alu instid0(SALU_CYCLE_1)
	s_and_not1_b32 vcc_lo, exec_lo, s8
	s_cbranch_vccnz .LBB14_1760
; %bb.1753:
	s_wait_xcnt 0x0
	v_and_b32_e32 v1, 0x7fffffff, v4
	v_mov_b32_e32 v3, 0x80
	s_mov_b32 s8, exec_lo
	s_delay_alu instid0(VALU_DEP_2)
	v_cmpx_gt_u32_e32 0x43800000, v1
	s_cbranch_execz .LBB14_1759
; %bb.1754:
	v_cmp_lt_u32_e32 vcc_lo, 0x3bffffff, v1
	s_mov_b32 s9, 0
                                        ; implicit-def: $vgpr1
	s_and_saveexec_b32 s10, vcc_lo
	s_delay_alu instid0(SALU_CYCLE_1)
	s_xor_b32 s10, exec_lo, s10
	s_cbranch_execz .LBB14_2050
; %bb.1755:
	v_bfe_u32 v1, v4, 20, 1
	s_mov_b32 s9, exec_lo
	s_delay_alu instid0(VALU_DEP_1) | instskip(NEXT) | instid1(VALU_DEP_1)
	v_add3_u32 v1, v4, v1, 0x487ffff
	v_lshrrev_b32_e32 v1, 20, v1
	s_and_not1_saveexec_b32 s10, s10
	s_cbranch_execnz .LBB14_2051
.LBB14_1756:
	s_or_b32 exec_lo, exec_lo, s10
	v_mov_b32_e32 v3, 0
	s_and_saveexec_b32 s10, s9
.LBB14_1757:
	v_lshrrev_b32_e32 v3, 24, v4
	s_delay_alu instid0(VALU_DEP_1)
	v_and_or_b32 v3, 0x80, v3, v1
.LBB14_1758:
	s_or_b32 exec_lo, exec_lo, s10
.LBB14_1759:
	s_delay_alu instid0(SALU_CYCLE_1)
	s_or_b32 exec_lo, exec_lo, s8
	global_store_b8 v[8:9], v3, off
.LBB14_1760:
	s_mov_b32 s8, -1
.LBB14_1761:
	s_mov_b32 s9, 0
.LBB14_1762:
	s_delay_alu instid0(SALU_CYCLE_1)
	s_and_b32 vcc_lo, exec_lo, s9
	s_cbranch_vccz .LBB14_1802
; %bb.1763:
	s_cmp_gt_i32 s6, 22
	s_mov_b32 s7, -1
	s_cbranch_scc0 .LBB14_1795
; %bb.1764:
	s_cmp_lt_i32 s6, 24
	s_cbranch_scc1 .LBB14_1784
; %bb.1765:
	s_cmp_gt_i32 s6, 24
	s_cbranch_scc0 .LBB14_1773
; %bb.1766:
	s_wait_xcnt 0x0
	v_and_b32_e32 v1, 0x7fffffff, v4
	v_mov_b32_e32 v3, 0x80
	s_mov_b32 s7, exec_lo
	s_delay_alu instid0(VALU_DEP_2)
	v_cmpx_gt_u32_e32 0x47800000, v1
	s_cbranch_execz .LBB14_1772
; %bb.1767:
	v_cmp_lt_u32_e32 vcc_lo, 0x37ffffff, v1
	s_mov_b32 s8, 0
                                        ; implicit-def: $vgpr1
	s_and_saveexec_b32 s9, vcc_lo
	s_delay_alu instid0(SALU_CYCLE_1)
	s_xor_b32 s9, exec_lo, s9
	s_cbranch_execz .LBB14_2053
; %bb.1768:
	v_bfe_u32 v1, v4, 21, 1
	s_mov_b32 s8, exec_lo
	s_delay_alu instid0(VALU_DEP_1) | instskip(NEXT) | instid1(VALU_DEP_1)
	v_add3_u32 v1, v4, v1, 0x88fffff
	v_lshrrev_b32_e32 v1, 21, v1
	s_and_not1_saveexec_b32 s9, s9
	s_cbranch_execnz .LBB14_2054
.LBB14_1769:
	s_or_b32 exec_lo, exec_lo, s9
	v_mov_b32_e32 v3, 0
	s_and_saveexec_b32 s9, s8
.LBB14_1770:
	v_lshrrev_b32_e32 v3, 24, v4
	s_delay_alu instid0(VALU_DEP_1)
	v_and_or_b32 v3, 0x80, v3, v1
.LBB14_1771:
	s_or_b32 exec_lo, exec_lo, s9
.LBB14_1772:
	s_delay_alu instid0(SALU_CYCLE_1)
	s_or_b32 exec_lo, exec_lo, s7
	s_mov_b32 s7, 0
	global_store_b8 v[8:9], v3, off
.LBB14_1773:
	s_and_b32 vcc_lo, exec_lo, s7
	s_cbranch_vccz .LBB14_1783
; %bb.1774:
	s_wait_xcnt 0x0
	v_and_b32_e32 v3, 0x7fffffff, v4
	s_mov_b32 s7, exec_lo
                                        ; implicit-def: $vgpr1
	s_delay_alu instid0(VALU_DEP_1)
	v_cmpx_gt_u32_e32 0x43f00000, v3
	s_xor_b32 s7, exec_lo, s7
	s_cbranch_execz .LBB14_1780
; %bb.1775:
	s_mov_b32 s8, exec_lo
                                        ; implicit-def: $vgpr1
	v_cmpx_lt_u32_e32 0x3c7fffff, v3
	s_xor_b32 s8, exec_lo, s8
; %bb.1776:
	v_bfe_u32 v1, v4, 20, 1
	s_delay_alu instid0(VALU_DEP_1) | instskip(NEXT) | instid1(VALU_DEP_1)
	v_add3_u32 v1, v4, v1, 0x407ffff
	v_and_b32_e32 v3, 0xff00000, v1
	v_lshrrev_b32_e32 v1, 20, v1
	s_delay_alu instid0(VALU_DEP_2) | instskip(NEXT) | instid1(VALU_DEP_2)
	v_cmp_ne_u32_e32 vcc_lo, 0x7f00000, v3
	v_cndmask_b32_e32 v1, 0x7e, v1, vcc_lo
; %bb.1777:
	s_and_not1_saveexec_b32 s8, s8
; %bb.1778:
	v_add_f32_e64 v1, 0x46800000, |v4|
; %bb.1779:
	s_or_b32 exec_lo, exec_lo, s8
                                        ; implicit-def: $vgpr3
.LBB14_1780:
	s_and_not1_saveexec_b32 s7, s7
; %bb.1781:
	v_mov_b32_e32 v1, 0x7f
	v_cmp_lt_u32_e32 vcc_lo, 0x7f800000, v3
	s_delay_alu instid0(VALU_DEP_2)
	v_cndmask_b32_e32 v1, 0x7e, v1, vcc_lo
; %bb.1782:
	s_or_b32 exec_lo, exec_lo, s7
	v_lshrrev_b32_e32 v3, 24, v4
	s_delay_alu instid0(VALU_DEP_1)
	v_and_or_b32 v1, 0x80, v3, v1
	global_store_b8 v[8:9], v1, off
.LBB14_1783:
	s_mov_b32 s7, 0
.LBB14_1784:
	s_delay_alu instid0(SALU_CYCLE_1)
	s_and_not1_b32 vcc_lo, exec_lo, s7
	s_cbranch_vccnz .LBB14_1794
; %bb.1785:
	s_wait_xcnt 0x0
	v_and_b32_e32 v3, 0x7fffffff, v4
	s_mov_b32 s7, exec_lo
                                        ; implicit-def: $vgpr1
	s_delay_alu instid0(VALU_DEP_1)
	v_cmpx_gt_u32_e32 0x47800000, v3
	s_xor_b32 s7, exec_lo, s7
	s_cbranch_execz .LBB14_1791
; %bb.1786:
	s_mov_b32 s8, exec_lo
                                        ; implicit-def: $vgpr1
	v_cmpx_lt_u32_e32 0x387fffff, v3
	s_xor_b32 s8, exec_lo, s8
; %bb.1787:
	v_bfe_u32 v1, v4, 21, 1
	s_delay_alu instid0(VALU_DEP_1) | instskip(NEXT) | instid1(VALU_DEP_1)
	v_add3_u32 v1, v4, v1, 0x80fffff
	v_lshrrev_b32_e32 v1, 21, v1
; %bb.1788:
	s_and_not1_saveexec_b32 s8, s8
; %bb.1789:
	v_add_f32_e64 v1, 0x43000000, |v4|
; %bb.1790:
	s_or_b32 exec_lo, exec_lo, s8
                                        ; implicit-def: $vgpr3
.LBB14_1791:
	s_and_not1_saveexec_b32 s7, s7
; %bb.1792:
	v_mov_b32_e32 v1, 0x7f
	v_cmp_lt_u32_e32 vcc_lo, 0x7f800000, v3
	s_delay_alu instid0(VALU_DEP_2)
	v_cndmask_b32_e32 v1, 0x7c, v1, vcc_lo
; %bb.1793:
	s_or_b32 exec_lo, exec_lo, s7
	v_lshrrev_b32_e32 v3, 24, v4
	s_delay_alu instid0(VALU_DEP_1)
	v_and_or_b32 v1, 0x80, v3, v1
	global_store_b8 v[8:9], v1, off
.LBB14_1794:
	s_mov_b32 s7, 0
	s_mov_b32 s8, -1
.LBB14_1795:
	s_and_not1_b32 vcc_lo, exec_lo, s7
	s_mov_b32 s7, 0
	s_cbranch_vccnz .LBB14_1802
; %bb.1796:
	s_cmp_gt_i32 s6, 14
	s_mov_b32 s7, -1
	s_cbranch_scc0 .LBB14_1800
; %bb.1797:
	s_cmp_eq_u32 s6, 15
	s_mov_b32 s0, -1
	s_cbranch_scc0 .LBB14_1799
; %bb.1798:
	s_wait_xcnt 0x0
	v_bfe_u32 v1, v4, 16, 1
	v_cmp_o_f32_e32 vcc_lo, v4, v4
	s_mov_b32 s0, 0
	s_mov_b32 s8, -1
	s_delay_alu instid0(VALU_DEP_2) | instskip(NEXT) | instid1(VALU_DEP_1)
	v_add3_u32 v1, v4, v1, 0x7fff
	v_lshrrev_b32_e32 v1, 16, v1
	s_delay_alu instid0(VALU_DEP_1)
	v_cndmask_b32_e32 v1, 0x7fc0, v1, vcc_lo
	global_store_b16 v[8:9], v1, off
.LBB14_1799:
	s_mov_b32 s7, 0
.LBB14_1800:
	s_delay_alu instid0(SALU_CYCLE_1)
	s_and_b32 vcc_lo, exec_lo, s7
	s_mov_b32 s7, 0
	s_cbranch_vccz .LBB14_1802
; %bb.1801:
	s_cmp_lg_u32 s6, 11
	s_mov_b32 s7, -1
	s_cselect_b32 s0, -1, 0
.LBB14_1802:
	s_delay_alu instid0(SALU_CYCLE_1)
	s_and_b32 vcc_lo, exec_lo, s0
	s_cbranch_vccnz .LBB14_2052
; %bb.1803:
	s_and_not1_b32 vcc_lo, exec_lo, s7
	s_cbranch_vccnz .LBB14_1805
.LBB14_1804:
	v_cmp_neq_f32_e32 vcc_lo, 0, v4
	s_mov_b32 s8, -1
	s_wait_xcnt 0x0
	v_cndmask_b32_e64 v1, 0, 1, vcc_lo
	global_store_b8 v[8:9], v1, off
.LBB14_1805:
	s_mov_b32 s0, 0
	s_branch .LBB14_1807
.LBB14_1806:
	s_mov_b32 s0, -1
	s_mov_b32 s8, 0
.LBB14_1807:
	s_and_b32 vcc_lo, exec_lo, s0
	s_cbranch_vccz .LBB14_1846
; %bb.1808:
	s_and_b32 s0, 0xffff, s13
	s_mov_b32 s6, -1
	s_cmp_lt_i32 s0, 5
	s_cbranch_scc1 .LBB14_1829
; %bb.1809:
	s_cmp_lt_i32 s0, 8
	s_cbranch_scc1 .LBB14_1819
; %bb.1810:
	;; [unrolled: 3-line block ×3, first 2 shown]
	s_cmp_gt_i32 s0, 9
	s_cbranch_scc0 .LBB14_1813
; %bb.1812:
	s_wait_xcnt 0x0
	v_cvt_f64_f32_e32 v[10:11], v4
	v_mov_b32_e32 v12, 0
	s_mov_b32 s6, 0
	s_delay_alu instid0(VALU_DEP_1)
	v_mov_b32_e32 v13, v12
	global_store_b128 v[8:9], v[10:13], off
.LBB14_1813:
	s_and_not1_b32 vcc_lo, exec_lo, s6
	s_cbranch_vccnz .LBB14_1815
; %bb.1814:
	v_mov_b32_e32 v5, 0
	global_store_b64 v[8:9], v[4:5], off
.LBB14_1815:
	s_mov_b32 s6, 0
.LBB14_1816:
	s_delay_alu instid0(SALU_CYCLE_1)
	s_and_not1_b32 vcc_lo, exec_lo, s6
	s_cbranch_vccnz .LBB14_1818
; %bb.1817:
	s_wait_xcnt 0x0
	v_cvt_f16_f32_e32 v1, v4
	s_delay_alu instid0(VALU_DEP_1)
	v_and_b32_e32 v1, 0xffff, v1
	global_store_b32 v[8:9], v1, off
.LBB14_1818:
	s_mov_b32 s6, 0
.LBB14_1819:
	s_delay_alu instid0(SALU_CYCLE_1)
	s_and_not1_b32 vcc_lo, exec_lo, s6
	s_cbranch_vccnz .LBB14_1828
; %bb.1820:
	s_cmp_lt_i32 s0, 6
	s_mov_b32 s6, -1
	s_cbranch_scc1 .LBB14_1826
; %bb.1821:
	s_cmp_gt_i32 s0, 6
	s_cbranch_scc0 .LBB14_1823
; %bb.1822:
	s_wait_xcnt 0x0
	v_cvt_f64_f32_e32 v[10:11], v4
	s_mov_b32 s6, 0
	global_store_b64 v[8:9], v[10:11], off
.LBB14_1823:
	s_and_not1_b32 vcc_lo, exec_lo, s6
	s_cbranch_vccnz .LBB14_1825
; %bb.1824:
	global_store_b32 v[8:9], v4, off
.LBB14_1825:
	s_mov_b32 s6, 0
.LBB14_1826:
	s_delay_alu instid0(SALU_CYCLE_1)
	s_and_not1_b32 vcc_lo, exec_lo, s6
	s_cbranch_vccnz .LBB14_1828
; %bb.1827:
	s_wait_xcnt 0x0
	v_cvt_f16_f32_e32 v1, v4
	global_store_b16 v[8:9], v1, off
.LBB14_1828:
	s_mov_b32 s6, 0
.LBB14_1829:
	s_delay_alu instid0(SALU_CYCLE_1)
	s_and_not1_b32 vcc_lo, exec_lo, s6
	s_cbranch_vccnz .LBB14_1845
; %bb.1830:
	s_cmp_lt_i32 s0, 2
	s_mov_b32 s6, -1
	s_cbranch_scc1 .LBB14_1840
; %bb.1831:
	s_cmp_lt_i32 s0, 3
	s_cbranch_scc1 .LBB14_1837
; %bb.1832:
	s_cmp_gt_i32 s0, 3
	s_cbranch_scc0 .LBB14_1834
; %bb.1833:
	s_wait_xcnt 0x0
	v_trunc_f32_e32 v1, v4
	s_mov_b32 s6, 0
	s_delay_alu instid0(VALU_DEP_1) | instskip(SKIP_1) | instid1(VALU_DEP_2)
	v_mul_f32_e64 v3, 0x2f800000, |v1|
	v_ashrrev_i32_e32 v10, 31, v1
	v_floor_f32_e32 v3, v3
	s_delay_alu instid0(VALU_DEP_1) | instskip(SKIP_1) | instid1(VALU_DEP_4)
	v_fma_f32 v5, 0xcf800000, v3, |v1|
	v_cvt_u32_f32_e32 v1, v3
	v_mov_b32_e32 v11, v10
	s_delay_alu instid0(VALU_DEP_3) | instskip(NEXT) | instid1(VALU_DEP_3)
	v_cvt_u32_f32_e32 v3, v5
	v_xor_b32_e32 v13, v1, v10
	s_delay_alu instid0(VALU_DEP_2) | instskip(NEXT) | instid1(VALU_DEP_1)
	v_xor_b32_e32 v12, v3, v10
	v_sub_nc_u64_e32 v[10:11], v[12:13], v[10:11]
	global_store_b64 v[8:9], v[10:11], off
.LBB14_1834:
	s_and_not1_b32 vcc_lo, exec_lo, s6
	s_cbranch_vccnz .LBB14_1836
; %bb.1835:
	s_wait_xcnt 0x0
	v_cvt_i32_f32_e32 v1, v4
	global_store_b32 v[8:9], v1, off
.LBB14_1836:
	s_mov_b32 s6, 0
.LBB14_1837:
	s_delay_alu instid0(SALU_CYCLE_1)
	s_and_not1_b32 vcc_lo, exec_lo, s6
	s_cbranch_vccnz .LBB14_1839
; %bb.1838:
	s_wait_xcnt 0x0
	v_cvt_i32_f32_e32 v1, v4
	global_store_b16 v[8:9], v1, off
.LBB14_1839:
	s_mov_b32 s6, 0
.LBB14_1840:
	s_delay_alu instid0(SALU_CYCLE_1)
	s_and_not1_b32 vcc_lo, exec_lo, s6
	s_cbranch_vccnz .LBB14_1845
; %bb.1841:
	s_cmp_gt_i32 s0, 0
	s_mov_b32 s0, -1
	s_cbranch_scc0 .LBB14_1843
; %bb.1842:
	s_wait_xcnt 0x0
	v_cvt_i32_f32_e32 v1, v4
	s_mov_b32 s0, 0
	global_store_b8 v[8:9], v1, off
.LBB14_1843:
	s_and_not1_b32 vcc_lo, exec_lo, s0
	s_cbranch_vccnz .LBB14_1845
; %bb.1844:
	s_wait_xcnt 0x0
	v_trunc_f32_e32 v1, v4
	s_delay_alu instid0(VALU_DEP_1) | instskip(NEXT) | instid1(VALU_DEP_1)
	v_mul_f32_e64 v3, 0x2f800000, |v1|
	v_floor_f32_e32 v3, v3
	s_delay_alu instid0(VALU_DEP_1) | instskip(SKIP_1) | instid1(VALU_DEP_2)
	v_fma_f32 v3, 0xcf800000, v3, |v1|
	v_ashrrev_i32_e32 v1, 31, v1
	v_cvt_u32_f32_e32 v3, v3
	s_delay_alu instid0(VALU_DEP_1) | instskip(NEXT) | instid1(VALU_DEP_1)
	v_xor_b32_e32 v3, v3, v1
	v_sub_nc_u32_e32 v1, v3, v1
	global_store_b8 v[8:9], v1, off
.LBB14_1845:
	s_mov_b32 s8, -1
.LBB14_1846:
	s_delay_alu instid0(SALU_CYCLE_1)
	s_and_not1_b32 vcc_lo, exec_lo, s8
	s_cbranch_vccnz .LBB14_2042
; %bb.1847:
	v_add_nc_u32_e32 v2, s2, v2
	s_cmp_lt_i32 s13, 11
	s_wait_xcnt 0x0
	s_delay_alu instid0(VALU_DEP_1) | instskip(NEXT) | instid1(VALU_DEP_1)
	v_ashrrev_i32_e32 v3, 31, v2
	v_add_nc_u64_e32 v[4:5], s[4:5], v[2:3]
	s_cbranch_scc1 .LBB14_1925
; %bb.1848:
	s_and_b32 s6, 0xffff, s13
	s_mov_b32 s9, -1
	s_mov_b32 s7, 0
	s_cmp_gt_i32 s6, 25
	s_mov_b32 s8, 0
	s_mov_b32 s0, 0
	s_cbranch_scc0 .LBB14_1881
; %bb.1849:
	s_cmp_gt_i32 s6, 28
	s_cbranch_scc0 .LBB14_1864
; %bb.1850:
	s_cmp_gt_i32 s6, 43
	;; [unrolled: 3-line block ×3, first 2 shown]
	s_cbranch_scc0 .LBB14_1854
; %bb.1852:
	s_mov_b32 s0, -1
	s_mov_b32 s9, 0
	s_cmp_eq_u32 s6, 46
	s_cbranch_scc0 .LBB14_1854
; %bb.1853:
	v_bfe_u32 v1, v6, 16, 1
	v_cmp_o_f32_e32 vcc_lo, v6, v6
	s_mov_b32 s0, 0
	s_mov_b32 s8, -1
	s_delay_alu instid0(VALU_DEP_2) | instskip(NEXT) | instid1(VALU_DEP_1)
	v_add3_u32 v1, v6, v1, 0x7fff
	v_lshrrev_b32_e32 v1, 16, v1
	s_delay_alu instid0(VALU_DEP_1)
	v_cndmask_b32_e32 v1, 0x7fc0, v1, vcc_lo
	global_store_b32 v[4:5], v1, off
.LBB14_1854:
	s_and_b32 vcc_lo, exec_lo, s9
	s_cbranch_vccz .LBB14_1859
; %bb.1855:
	s_cmp_eq_u32 s6, 44
	s_mov_b32 s0, -1
	s_cbranch_scc0 .LBB14_1859
; %bb.1856:
	v_bfe_u32 v3, v6, 23, 8
	s_wait_xcnt 0x0
	v_mov_b32_e32 v1, 0xff
	s_mov_b32 s8, exec_lo
	s_delay_alu instid0(VALU_DEP_2)
	v_cmpx_ne_u32_e32 0xff, v3
	s_cbranch_execz .LBB14_1858
; %bb.1857:
	v_and_b32_e32 v1, 0x400000, v6
	v_and_or_b32 v3, 0x3fffff, v6, v3
	s_delay_alu instid0(VALU_DEP_2) | instskip(NEXT) | instid1(VALU_DEP_2)
	v_cmp_ne_u32_e32 vcc_lo, 0, v1
	v_cmp_ne_u32_e64 s0, 0, v3
	v_lshrrev_b32_e32 v1, 23, v6
	s_and_b32 s0, vcc_lo, s0
	s_delay_alu instid0(SALU_CYCLE_1) | instskip(NEXT) | instid1(VALU_DEP_1)
	v_cndmask_b32_e64 v3, 0, 1, s0
	v_add_nc_u32_e32 v1, v1, v3
.LBB14_1858:
	s_or_b32 exec_lo, exec_lo, s8
	s_mov_b32 s0, 0
	s_mov_b32 s8, -1
	global_store_b8 v[4:5], v1, off
.LBB14_1859:
	s_mov_b32 s9, 0
.LBB14_1860:
	s_delay_alu instid0(SALU_CYCLE_1)
	s_and_b32 vcc_lo, exec_lo, s9
	s_cbranch_vccz .LBB14_1863
; %bb.1861:
	s_cmp_eq_u32 s6, 29
	s_mov_b32 s0, -1
	s_cbranch_scc0 .LBB14_1863
; %bb.1862:
	s_wait_xcnt 0x0
	v_trunc_f32_e32 v1, v6
	s_mov_b32 s0, 0
	s_mov_b32 s8, -1
	s_delay_alu instid0(VALU_DEP_1) | instskip(NEXT) | instid1(VALU_DEP_1)
	v_mul_f32_e32 v3, 0x2f800000, v1
	v_floor_f32_e32 v3, v3
	s_delay_alu instid0(VALU_DEP_1) | instskip(SKIP_1) | instid1(VALU_DEP_2)
	v_fmamk_f32 v1, v3, 0xcf800000, v1
	v_cvt_u32_f32_e32 v9, v3
	v_cvt_u32_f32_e32 v8, v1
	global_store_b64 v[4:5], v[8:9], off
.LBB14_1863:
	s_mov_b32 s9, 0
.LBB14_1864:
	s_delay_alu instid0(SALU_CYCLE_1)
	s_and_b32 vcc_lo, exec_lo, s9
	s_cbranch_vccz .LBB14_1880
; %bb.1865:
	s_cmp_lt_i32 s6, 27
	s_mov_b32 s8, -1
	s_cbranch_scc1 .LBB14_1871
; %bb.1866:
	s_wait_xcnt 0x0
	v_cvt_u32_f32_e32 v1, v6
	s_cmp_gt_i32 s6, 27
	s_cbranch_scc0 .LBB14_1868
; %bb.1867:
	s_mov_b32 s8, 0
	global_store_b32 v[4:5], v1, off
.LBB14_1868:
	s_and_not1_b32 vcc_lo, exec_lo, s8
	s_cbranch_vccnz .LBB14_1870
; %bb.1869:
	global_store_b16 v[4:5], v1, off
.LBB14_1870:
	s_mov_b32 s8, 0
.LBB14_1871:
	s_delay_alu instid0(SALU_CYCLE_1)
	s_and_not1_b32 vcc_lo, exec_lo, s8
	s_cbranch_vccnz .LBB14_1879
; %bb.1872:
	s_wait_xcnt 0x0
	v_and_b32_e32 v1, 0x7fffffff, v6
	v_mov_b32_e32 v3, 0x80
	s_mov_b32 s8, exec_lo
	s_delay_alu instid0(VALU_DEP_2)
	v_cmpx_gt_u32_e32 0x43800000, v1
	s_cbranch_execz .LBB14_1878
; %bb.1873:
	v_cmp_lt_u32_e32 vcc_lo, 0x3bffffff, v1
	s_mov_b32 s9, 0
                                        ; implicit-def: $vgpr1
	s_and_saveexec_b32 s10, vcc_lo
	s_delay_alu instid0(SALU_CYCLE_1)
	s_xor_b32 s10, exec_lo, s10
	s_cbranch_execz .LBB14_2055
; %bb.1874:
	v_bfe_u32 v1, v6, 20, 1
	s_mov_b32 s9, exec_lo
	s_delay_alu instid0(VALU_DEP_1) | instskip(NEXT) | instid1(VALU_DEP_1)
	v_add3_u32 v1, v6, v1, 0x487ffff
	v_lshrrev_b32_e32 v1, 20, v1
	s_and_not1_saveexec_b32 s10, s10
	s_cbranch_execnz .LBB14_2056
.LBB14_1875:
	s_or_b32 exec_lo, exec_lo, s10
	v_mov_b32_e32 v3, 0
	s_and_saveexec_b32 s10, s9
.LBB14_1876:
	v_lshrrev_b32_e32 v3, 24, v6
	s_delay_alu instid0(VALU_DEP_1)
	v_and_or_b32 v3, 0x80, v3, v1
.LBB14_1877:
	s_or_b32 exec_lo, exec_lo, s10
.LBB14_1878:
	s_delay_alu instid0(SALU_CYCLE_1)
	s_or_b32 exec_lo, exec_lo, s8
	global_store_b8 v[4:5], v3, off
.LBB14_1879:
	s_mov_b32 s8, -1
.LBB14_1880:
	s_mov_b32 s9, 0
.LBB14_1881:
	s_delay_alu instid0(SALU_CYCLE_1)
	s_and_b32 vcc_lo, exec_lo, s9
	s_cbranch_vccz .LBB14_1921
; %bb.1882:
	s_cmp_gt_i32 s6, 22
	s_mov_b32 s7, -1
	s_cbranch_scc0 .LBB14_1914
; %bb.1883:
	s_cmp_lt_i32 s6, 24
	s_cbranch_scc1 .LBB14_1903
; %bb.1884:
	s_cmp_gt_i32 s6, 24
	s_cbranch_scc0 .LBB14_1892
; %bb.1885:
	s_wait_xcnt 0x0
	v_and_b32_e32 v1, 0x7fffffff, v6
	v_mov_b32_e32 v3, 0x80
	s_mov_b32 s7, exec_lo
	s_delay_alu instid0(VALU_DEP_2)
	v_cmpx_gt_u32_e32 0x47800000, v1
	s_cbranch_execz .LBB14_1891
; %bb.1886:
	v_cmp_lt_u32_e32 vcc_lo, 0x37ffffff, v1
	s_mov_b32 s8, 0
                                        ; implicit-def: $vgpr1
	s_and_saveexec_b32 s9, vcc_lo
	s_delay_alu instid0(SALU_CYCLE_1)
	s_xor_b32 s9, exec_lo, s9
	s_cbranch_execz .LBB14_2058
; %bb.1887:
	v_bfe_u32 v1, v6, 21, 1
	s_mov_b32 s8, exec_lo
	s_delay_alu instid0(VALU_DEP_1) | instskip(NEXT) | instid1(VALU_DEP_1)
	v_add3_u32 v1, v6, v1, 0x88fffff
	v_lshrrev_b32_e32 v1, 21, v1
	s_and_not1_saveexec_b32 s9, s9
	s_cbranch_execnz .LBB14_2059
.LBB14_1888:
	s_or_b32 exec_lo, exec_lo, s9
	v_mov_b32_e32 v3, 0
	s_and_saveexec_b32 s9, s8
.LBB14_1889:
	v_lshrrev_b32_e32 v3, 24, v6
	s_delay_alu instid0(VALU_DEP_1)
	v_and_or_b32 v3, 0x80, v3, v1
.LBB14_1890:
	s_or_b32 exec_lo, exec_lo, s9
.LBB14_1891:
	s_delay_alu instid0(SALU_CYCLE_1)
	s_or_b32 exec_lo, exec_lo, s7
	s_mov_b32 s7, 0
	global_store_b8 v[4:5], v3, off
.LBB14_1892:
	s_and_b32 vcc_lo, exec_lo, s7
	s_cbranch_vccz .LBB14_1902
; %bb.1893:
	s_wait_xcnt 0x0
	v_and_b32_e32 v3, 0x7fffffff, v6
	s_mov_b32 s7, exec_lo
                                        ; implicit-def: $vgpr1
	s_delay_alu instid0(VALU_DEP_1)
	v_cmpx_gt_u32_e32 0x43f00000, v3
	s_xor_b32 s7, exec_lo, s7
	s_cbranch_execz .LBB14_1899
; %bb.1894:
	s_mov_b32 s8, exec_lo
                                        ; implicit-def: $vgpr1
	v_cmpx_lt_u32_e32 0x3c7fffff, v3
	s_xor_b32 s8, exec_lo, s8
; %bb.1895:
	v_bfe_u32 v1, v6, 20, 1
	s_delay_alu instid0(VALU_DEP_1) | instskip(NEXT) | instid1(VALU_DEP_1)
	v_add3_u32 v1, v6, v1, 0x407ffff
	v_and_b32_e32 v3, 0xff00000, v1
	v_lshrrev_b32_e32 v1, 20, v1
	s_delay_alu instid0(VALU_DEP_2) | instskip(NEXT) | instid1(VALU_DEP_2)
	v_cmp_ne_u32_e32 vcc_lo, 0x7f00000, v3
	v_cndmask_b32_e32 v1, 0x7e, v1, vcc_lo
; %bb.1896:
	s_and_not1_saveexec_b32 s8, s8
; %bb.1897:
	v_add_f32_e64 v1, 0x46800000, |v6|
; %bb.1898:
	s_or_b32 exec_lo, exec_lo, s8
                                        ; implicit-def: $vgpr3
.LBB14_1899:
	s_and_not1_saveexec_b32 s7, s7
; %bb.1900:
	v_mov_b32_e32 v1, 0x7f
	v_cmp_lt_u32_e32 vcc_lo, 0x7f800000, v3
	s_delay_alu instid0(VALU_DEP_2)
	v_cndmask_b32_e32 v1, 0x7e, v1, vcc_lo
; %bb.1901:
	s_or_b32 exec_lo, exec_lo, s7
	v_lshrrev_b32_e32 v3, 24, v6
	s_delay_alu instid0(VALU_DEP_1)
	v_and_or_b32 v1, 0x80, v3, v1
	global_store_b8 v[4:5], v1, off
.LBB14_1902:
	s_mov_b32 s7, 0
.LBB14_1903:
	s_delay_alu instid0(SALU_CYCLE_1)
	s_and_not1_b32 vcc_lo, exec_lo, s7
	s_cbranch_vccnz .LBB14_1913
; %bb.1904:
	s_wait_xcnt 0x0
	v_and_b32_e32 v3, 0x7fffffff, v6
	s_mov_b32 s7, exec_lo
                                        ; implicit-def: $vgpr1
	s_delay_alu instid0(VALU_DEP_1)
	v_cmpx_gt_u32_e32 0x47800000, v3
	s_xor_b32 s7, exec_lo, s7
	s_cbranch_execz .LBB14_1910
; %bb.1905:
	s_mov_b32 s8, exec_lo
                                        ; implicit-def: $vgpr1
	v_cmpx_lt_u32_e32 0x387fffff, v3
	s_xor_b32 s8, exec_lo, s8
; %bb.1906:
	v_bfe_u32 v1, v6, 21, 1
	s_delay_alu instid0(VALU_DEP_1) | instskip(NEXT) | instid1(VALU_DEP_1)
	v_add3_u32 v1, v6, v1, 0x80fffff
	v_lshrrev_b32_e32 v1, 21, v1
; %bb.1907:
	s_and_not1_saveexec_b32 s8, s8
; %bb.1908:
	v_add_f32_e64 v1, 0x43000000, |v6|
; %bb.1909:
	s_or_b32 exec_lo, exec_lo, s8
                                        ; implicit-def: $vgpr3
.LBB14_1910:
	s_and_not1_saveexec_b32 s7, s7
; %bb.1911:
	v_mov_b32_e32 v1, 0x7f
	v_cmp_lt_u32_e32 vcc_lo, 0x7f800000, v3
	s_delay_alu instid0(VALU_DEP_2)
	v_cndmask_b32_e32 v1, 0x7c, v1, vcc_lo
; %bb.1912:
	s_or_b32 exec_lo, exec_lo, s7
	v_lshrrev_b32_e32 v3, 24, v6
	s_delay_alu instid0(VALU_DEP_1)
	v_and_or_b32 v1, 0x80, v3, v1
	global_store_b8 v[4:5], v1, off
.LBB14_1913:
	s_mov_b32 s7, 0
	s_mov_b32 s8, -1
.LBB14_1914:
	s_and_not1_b32 vcc_lo, exec_lo, s7
	s_mov_b32 s7, 0
	s_cbranch_vccnz .LBB14_1921
; %bb.1915:
	s_cmp_gt_i32 s6, 14
	s_mov_b32 s7, -1
	s_cbranch_scc0 .LBB14_1919
; %bb.1916:
	s_cmp_eq_u32 s6, 15
	s_mov_b32 s0, -1
	s_cbranch_scc0 .LBB14_1918
; %bb.1917:
	s_wait_xcnt 0x0
	v_bfe_u32 v1, v6, 16, 1
	v_cmp_o_f32_e32 vcc_lo, v6, v6
	s_mov_b32 s0, 0
	s_mov_b32 s8, -1
	s_delay_alu instid0(VALU_DEP_2) | instskip(NEXT) | instid1(VALU_DEP_1)
	v_add3_u32 v1, v6, v1, 0x7fff
	v_lshrrev_b32_e32 v1, 16, v1
	s_delay_alu instid0(VALU_DEP_1)
	v_cndmask_b32_e32 v1, 0x7fc0, v1, vcc_lo
	global_store_b16 v[4:5], v1, off
.LBB14_1918:
	s_mov_b32 s7, 0
.LBB14_1919:
	s_delay_alu instid0(SALU_CYCLE_1)
	s_and_b32 vcc_lo, exec_lo, s7
	s_mov_b32 s7, 0
	s_cbranch_vccz .LBB14_1921
; %bb.1920:
	s_cmp_lg_u32 s6, 11
	s_mov_b32 s7, -1
	s_cselect_b32 s0, -1, 0
.LBB14_1921:
	s_delay_alu instid0(SALU_CYCLE_1)
	s_and_b32 vcc_lo, exec_lo, s0
	s_cbranch_vccnz .LBB14_2057
; %bb.1922:
	s_and_not1_b32 vcc_lo, exec_lo, s7
	s_cbranch_vccnz .LBB14_1924
.LBB14_1923:
	v_cmp_neq_f32_e32 vcc_lo, 0, v6
	s_mov_b32 s8, -1
	s_wait_xcnt 0x0
	v_cndmask_b32_e64 v1, 0, 1, vcc_lo
	global_store_b8 v[4:5], v1, off
.LBB14_1924:
	s_mov_b32 s0, 0
	s_branch .LBB14_1926
.LBB14_1925:
	s_mov_b32 s0, -1
	s_mov_b32 s8, 0
.LBB14_1926:
	s_and_b32 vcc_lo, exec_lo, s0
	s_cbranch_vccz .LBB14_1965
; %bb.1927:
	s_and_b32 s0, 0xffff, s13
	s_mov_b32 s6, -1
	s_cmp_lt_i32 s0, 5
	s_cbranch_scc1 .LBB14_1948
; %bb.1928:
	s_cmp_lt_i32 s0, 8
	s_cbranch_scc1 .LBB14_1938
; %bb.1929:
	;; [unrolled: 3-line block ×3, first 2 shown]
	s_cmp_gt_i32 s0, 9
	s_cbranch_scc0 .LBB14_1932
; %bb.1931:
	s_wait_xcnt 0x0
	v_cvt_f64_f32_e32 v[8:9], v6
	v_mov_b32_e32 v10, 0
	s_mov_b32 s6, 0
	s_delay_alu instid0(VALU_DEP_1)
	v_mov_b32_e32 v11, v10
	global_store_b128 v[4:5], v[8:11], off
.LBB14_1932:
	s_and_not1_b32 vcc_lo, exec_lo, s6
	s_cbranch_vccnz .LBB14_1934
; %bb.1933:
	v_mov_b32_e32 v7, 0
	global_store_b64 v[4:5], v[6:7], off
.LBB14_1934:
	s_mov_b32 s6, 0
.LBB14_1935:
	s_delay_alu instid0(SALU_CYCLE_1)
	s_and_not1_b32 vcc_lo, exec_lo, s6
	s_cbranch_vccnz .LBB14_1937
; %bb.1936:
	s_wait_xcnt 0x0
	v_cvt_f16_f32_e32 v1, v6
	s_delay_alu instid0(VALU_DEP_1)
	v_and_b32_e32 v1, 0xffff, v1
	global_store_b32 v[4:5], v1, off
.LBB14_1937:
	s_mov_b32 s6, 0
.LBB14_1938:
	s_delay_alu instid0(SALU_CYCLE_1)
	s_and_not1_b32 vcc_lo, exec_lo, s6
	s_cbranch_vccnz .LBB14_1947
; %bb.1939:
	s_cmp_lt_i32 s0, 6
	s_mov_b32 s6, -1
	s_cbranch_scc1 .LBB14_1945
; %bb.1940:
	s_cmp_gt_i32 s0, 6
	s_cbranch_scc0 .LBB14_1942
; %bb.1941:
	s_wait_xcnt 0x0
	v_cvt_f64_f32_e32 v[8:9], v6
	s_mov_b32 s6, 0
	global_store_b64 v[4:5], v[8:9], off
.LBB14_1942:
	s_and_not1_b32 vcc_lo, exec_lo, s6
	s_cbranch_vccnz .LBB14_1944
; %bb.1943:
	global_store_b32 v[4:5], v6, off
.LBB14_1944:
	s_mov_b32 s6, 0
.LBB14_1945:
	s_delay_alu instid0(SALU_CYCLE_1)
	s_and_not1_b32 vcc_lo, exec_lo, s6
	s_cbranch_vccnz .LBB14_1947
; %bb.1946:
	s_wait_xcnt 0x0
	v_cvt_f16_f32_e32 v1, v6
	global_store_b16 v[4:5], v1, off
.LBB14_1947:
	s_mov_b32 s6, 0
.LBB14_1948:
	s_delay_alu instid0(SALU_CYCLE_1)
	s_and_not1_b32 vcc_lo, exec_lo, s6
	s_cbranch_vccnz .LBB14_1964
; %bb.1949:
	s_cmp_lt_i32 s0, 2
	s_mov_b32 s6, -1
	s_cbranch_scc1 .LBB14_1959
; %bb.1950:
	s_cmp_lt_i32 s0, 3
	s_cbranch_scc1 .LBB14_1956
; %bb.1951:
	s_cmp_gt_i32 s0, 3
	s_cbranch_scc0 .LBB14_1953
; %bb.1952:
	s_wait_xcnt 0x0
	v_trunc_f32_e32 v1, v6
	s_mov_b32 s6, 0
	s_delay_alu instid0(VALU_DEP_1) | instskip(SKIP_1) | instid1(VALU_DEP_2)
	v_mul_f32_e64 v3, 0x2f800000, |v1|
	v_ashrrev_i32_e32 v8, 31, v1
	v_floor_f32_e32 v3, v3
	s_delay_alu instid0(VALU_DEP_1) | instskip(SKIP_1) | instid1(VALU_DEP_4)
	v_fma_f32 v7, 0xcf800000, v3, |v1|
	v_cvt_u32_f32_e32 v1, v3
	v_mov_b32_e32 v9, v8
	s_delay_alu instid0(VALU_DEP_3) | instskip(NEXT) | instid1(VALU_DEP_3)
	v_cvt_u32_f32_e32 v3, v7
	v_xor_b32_e32 v11, v1, v8
	s_delay_alu instid0(VALU_DEP_2) | instskip(NEXT) | instid1(VALU_DEP_1)
	v_xor_b32_e32 v10, v3, v8
	v_sub_nc_u64_e32 v[8:9], v[10:11], v[8:9]
	global_store_b64 v[4:5], v[8:9], off
.LBB14_1953:
	s_and_not1_b32 vcc_lo, exec_lo, s6
	s_cbranch_vccnz .LBB14_1955
; %bb.1954:
	s_wait_xcnt 0x0
	v_cvt_i32_f32_e32 v1, v6
	global_store_b32 v[4:5], v1, off
.LBB14_1955:
	s_mov_b32 s6, 0
.LBB14_1956:
	s_delay_alu instid0(SALU_CYCLE_1)
	s_and_not1_b32 vcc_lo, exec_lo, s6
	s_cbranch_vccnz .LBB14_1958
; %bb.1957:
	s_wait_xcnt 0x0
	v_cvt_i32_f32_e32 v1, v6
	global_store_b16 v[4:5], v1, off
.LBB14_1958:
	s_mov_b32 s6, 0
.LBB14_1959:
	s_delay_alu instid0(SALU_CYCLE_1)
	s_and_not1_b32 vcc_lo, exec_lo, s6
	s_cbranch_vccnz .LBB14_1964
; %bb.1960:
	s_cmp_gt_i32 s0, 0
	s_mov_b32 s0, -1
	s_cbranch_scc0 .LBB14_1962
; %bb.1961:
	s_wait_xcnt 0x0
	v_cvt_i32_f32_e32 v1, v6
	s_mov_b32 s0, 0
	global_store_b8 v[4:5], v1, off
.LBB14_1962:
	s_and_not1_b32 vcc_lo, exec_lo, s0
	s_cbranch_vccnz .LBB14_1964
; %bb.1963:
	s_wait_xcnt 0x0
	v_trunc_f32_e32 v1, v6
	s_delay_alu instid0(VALU_DEP_1) | instskip(NEXT) | instid1(VALU_DEP_1)
	v_mul_f32_e64 v3, 0x2f800000, |v1|
	v_floor_f32_e32 v3, v3
	s_delay_alu instid0(VALU_DEP_1) | instskip(SKIP_1) | instid1(VALU_DEP_2)
	v_fma_f32 v3, 0xcf800000, v3, |v1|
	v_ashrrev_i32_e32 v1, 31, v1
	v_cvt_u32_f32_e32 v3, v3
	s_delay_alu instid0(VALU_DEP_1) | instskip(NEXT) | instid1(VALU_DEP_1)
	v_xor_b32_e32 v3, v3, v1
	v_sub_nc_u32_e32 v1, v3, v1
	global_store_b8 v[4:5], v1, off
.LBB14_1964:
	s_mov_b32 s8, -1
.LBB14_1965:
	s_delay_alu instid0(SALU_CYCLE_1)
	s_and_not1_b32 vcc_lo, exec_lo, s8
	s_cbranch_vccnz .LBB14_2042
; %bb.1966:
	v_add_nc_u32_e32 v2, s2, v2
	s_cmp_lt_i32 s13, 11
	s_wait_xcnt 0x0
	s_delay_alu instid0(VALU_DEP_1) | instskip(NEXT) | instid1(VALU_DEP_1)
	v_ashrrev_i32_e32 v3, 31, v2
	v_add_nc_u64_e32 v[2:3], s[4:5], v[2:3]
	s_cbranch_scc1 .LBB14_2043
; %bb.1967:
	s_and_b32 s2, 0xffff, s13
	s_mov_b32 s5, -1
	s_mov_b32 s4, 0
	s_cmp_gt_i32 s2, 25
	s_mov_b32 s0, 0
	s_cbranch_scc0 .LBB14_2000
; %bb.1968:
	s_cmp_gt_i32 s2, 28
	s_cbranch_scc0 .LBB14_1984
; %bb.1969:
	s_cmp_gt_i32 s2, 43
	;; [unrolled: 3-line block ×3, first 2 shown]
	s_cbranch_scc0 .LBB14_1974
; %bb.1971:
	s_cmp_eq_u32 s2, 46
	s_mov_b32 s0, -1
	s_cbranch_scc0 .LBB14_1973
; %bb.1972:
	v_bfe_u32 v1, v0, 16, 1
	v_cmp_o_f32_e32 vcc_lo, v0, v0
	s_mov_b32 s0, 0
	s_delay_alu instid0(VALU_DEP_2) | instskip(NEXT) | instid1(VALU_DEP_1)
	v_add3_u32 v1, v0, v1, 0x7fff
	v_lshrrev_b32_e32 v1, 16, v1
	s_delay_alu instid0(VALU_DEP_1)
	v_cndmask_b32_e32 v1, 0x7fc0, v1, vcc_lo
	global_store_b32 v[2:3], v1, off
.LBB14_1973:
	s_mov_b32 s5, 0
.LBB14_1974:
	s_delay_alu instid0(SALU_CYCLE_1)
	s_and_b32 vcc_lo, exec_lo, s5
	s_cbranch_vccz .LBB14_1979
; %bb.1975:
	s_cmp_eq_u32 s2, 44
	s_mov_b32 s0, -1
	s_cbranch_scc0 .LBB14_1979
; %bb.1976:
	v_bfe_u32 v4, v0, 23, 8
	s_wait_xcnt 0x0
	v_mov_b32_e32 v1, 0xff
	s_mov_b32 s5, exec_lo
	s_delay_alu instid0(VALU_DEP_2)
	v_cmpx_ne_u32_e32 0xff, v4
	s_cbranch_execz .LBB14_1978
; %bb.1977:
	v_and_b32_e32 v1, 0x400000, v0
	v_and_or_b32 v4, 0x3fffff, v0, v4
	s_delay_alu instid0(VALU_DEP_2) | instskip(NEXT) | instid1(VALU_DEP_2)
	v_cmp_ne_u32_e32 vcc_lo, 0, v1
	v_cmp_ne_u32_e64 s0, 0, v4
	v_lshrrev_b32_e32 v1, 23, v0
	s_and_b32 s0, vcc_lo, s0
	s_delay_alu instid0(SALU_CYCLE_1) | instskip(NEXT) | instid1(VALU_DEP_1)
	v_cndmask_b32_e64 v4, 0, 1, s0
	v_add_nc_u32_e32 v1, v1, v4
.LBB14_1978:
	s_or_b32 exec_lo, exec_lo, s5
	s_mov_b32 s0, 0
	global_store_b8 v[2:3], v1, off
.LBB14_1979:
	s_mov_b32 s5, 0
.LBB14_1980:
	s_delay_alu instid0(SALU_CYCLE_1)
	s_and_b32 vcc_lo, exec_lo, s5
	s_cbranch_vccz .LBB14_1983
; %bb.1981:
	s_cmp_eq_u32 s2, 29
	s_mov_b32 s0, -1
	s_cbranch_scc0 .LBB14_1983
; %bb.1982:
	s_wait_xcnt 0x0
	v_trunc_f32_e32 v1, v0
	s_mov_b32 s0, 0
	s_delay_alu instid0(VALU_DEP_1) | instskip(NEXT) | instid1(VALU_DEP_1)
	v_mul_f32_e32 v4, 0x2f800000, v1
	v_floor_f32_e32 v4, v4
	s_delay_alu instid0(VALU_DEP_1) | instskip(SKIP_1) | instid1(VALU_DEP_2)
	v_fmamk_f32 v1, v4, 0xcf800000, v1
	v_cvt_u32_f32_e32 v5, v4
	v_cvt_u32_f32_e32 v4, v1
	global_store_b64 v[2:3], v[4:5], off
.LBB14_1983:
	s_mov_b32 s5, 0
.LBB14_1984:
	s_delay_alu instid0(SALU_CYCLE_1)
	s_and_b32 vcc_lo, exec_lo, s5
	s_cbranch_vccz .LBB14_1999
; %bb.1985:
	s_cmp_lt_i32 s2, 27
	s_mov_b32 s5, -1
	s_cbranch_scc1 .LBB14_1991
; %bb.1986:
	s_wait_xcnt 0x0
	v_cvt_u32_f32_e32 v1, v0
	s_cmp_gt_i32 s2, 27
	s_cbranch_scc0 .LBB14_1988
; %bb.1987:
	s_mov_b32 s5, 0
	global_store_b32 v[2:3], v1, off
.LBB14_1988:
	s_and_not1_b32 vcc_lo, exec_lo, s5
	s_cbranch_vccnz .LBB14_1990
; %bb.1989:
	global_store_b16 v[2:3], v1, off
.LBB14_1990:
	s_mov_b32 s5, 0
.LBB14_1991:
	s_delay_alu instid0(SALU_CYCLE_1)
	s_and_not1_b32 vcc_lo, exec_lo, s5
	s_cbranch_vccnz .LBB14_1999
; %bb.1992:
	s_wait_xcnt 0x0
	v_and_b32_e32 v1, 0x7fffffff, v0
	v_mov_b32_e32 v4, 0x80
	s_mov_b32 s5, exec_lo
	s_delay_alu instid0(VALU_DEP_2)
	v_cmpx_gt_u32_e32 0x43800000, v1
	s_cbranch_execz .LBB14_1998
; %bb.1993:
	v_cmp_lt_u32_e32 vcc_lo, 0x3bffffff, v1
	s_mov_b32 s6, 0
                                        ; implicit-def: $vgpr1
	s_and_saveexec_b32 s7, vcc_lo
	s_delay_alu instid0(SALU_CYCLE_1)
	s_xor_b32 s7, exec_lo, s7
	s_cbranch_execz .LBB14_2060
; %bb.1994:
	v_bfe_u32 v1, v0, 20, 1
	s_mov_b32 s6, exec_lo
	s_delay_alu instid0(VALU_DEP_1) | instskip(NEXT) | instid1(VALU_DEP_1)
	v_add3_u32 v1, v0, v1, 0x487ffff
	v_lshrrev_b32_e32 v1, 20, v1
	s_and_not1_saveexec_b32 s7, s7
	s_cbranch_execnz .LBB14_2061
.LBB14_1995:
	s_or_b32 exec_lo, exec_lo, s7
	v_mov_b32_e32 v4, 0
	s_and_saveexec_b32 s7, s6
.LBB14_1996:
	v_lshrrev_b32_e32 v4, 24, v0
	s_delay_alu instid0(VALU_DEP_1)
	v_and_or_b32 v4, 0x80, v4, v1
.LBB14_1997:
	s_or_b32 exec_lo, exec_lo, s7
.LBB14_1998:
	s_delay_alu instid0(SALU_CYCLE_1)
	s_or_b32 exec_lo, exec_lo, s5
	global_store_b8 v[2:3], v4, off
.LBB14_1999:
	s_mov_b32 s5, 0
.LBB14_2000:
	s_delay_alu instid0(SALU_CYCLE_1)
	s_and_b32 vcc_lo, exec_lo, s5
	s_cbranch_vccz .LBB14_2040
; %bb.2001:
	s_cmp_gt_i32 s2, 22
	s_mov_b32 s4, -1
	s_cbranch_scc0 .LBB14_2033
; %bb.2002:
	s_cmp_lt_i32 s2, 24
	s_cbranch_scc1 .LBB14_2022
; %bb.2003:
	s_cmp_gt_i32 s2, 24
	s_cbranch_scc0 .LBB14_2011
; %bb.2004:
	s_wait_xcnt 0x0
	v_and_b32_e32 v1, 0x7fffffff, v0
	v_mov_b32_e32 v4, 0x80
	s_mov_b32 s4, exec_lo
	s_delay_alu instid0(VALU_DEP_2)
	v_cmpx_gt_u32_e32 0x47800000, v1
	s_cbranch_execz .LBB14_2010
; %bb.2005:
	v_cmp_lt_u32_e32 vcc_lo, 0x37ffffff, v1
	s_mov_b32 s5, 0
                                        ; implicit-def: $vgpr1
	s_and_saveexec_b32 s6, vcc_lo
	s_delay_alu instid0(SALU_CYCLE_1)
	s_xor_b32 s6, exec_lo, s6
	s_cbranch_execz .LBB14_2063
; %bb.2006:
	v_bfe_u32 v1, v0, 21, 1
	s_mov_b32 s5, exec_lo
	s_delay_alu instid0(VALU_DEP_1) | instskip(NEXT) | instid1(VALU_DEP_1)
	v_add3_u32 v1, v0, v1, 0x88fffff
	v_lshrrev_b32_e32 v1, 21, v1
	s_and_not1_saveexec_b32 s6, s6
	s_cbranch_execnz .LBB14_2064
.LBB14_2007:
	s_or_b32 exec_lo, exec_lo, s6
	v_mov_b32_e32 v4, 0
	s_and_saveexec_b32 s6, s5
.LBB14_2008:
	v_lshrrev_b32_e32 v4, 24, v0
	s_delay_alu instid0(VALU_DEP_1)
	v_and_or_b32 v4, 0x80, v4, v1
.LBB14_2009:
	s_or_b32 exec_lo, exec_lo, s6
.LBB14_2010:
	s_delay_alu instid0(SALU_CYCLE_1)
	s_or_b32 exec_lo, exec_lo, s4
	s_mov_b32 s4, 0
	global_store_b8 v[2:3], v4, off
.LBB14_2011:
	s_and_b32 vcc_lo, exec_lo, s4
	s_cbranch_vccz .LBB14_2021
; %bb.2012:
	s_wait_xcnt 0x0
	v_and_b32_e32 v4, 0x7fffffff, v0
	s_mov_b32 s4, exec_lo
                                        ; implicit-def: $vgpr1
	s_delay_alu instid0(VALU_DEP_1)
	v_cmpx_gt_u32_e32 0x43f00000, v4
	s_xor_b32 s4, exec_lo, s4
	s_cbranch_execz .LBB14_2018
; %bb.2013:
	s_mov_b32 s5, exec_lo
                                        ; implicit-def: $vgpr1
	v_cmpx_lt_u32_e32 0x3c7fffff, v4
	s_xor_b32 s5, exec_lo, s5
; %bb.2014:
	v_bfe_u32 v1, v0, 20, 1
	s_delay_alu instid0(VALU_DEP_1) | instskip(NEXT) | instid1(VALU_DEP_1)
	v_add3_u32 v1, v0, v1, 0x407ffff
	v_and_b32_e32 v4, 0xff00000, v1
	v_lshrrev_b32_e32 v1, 20, v1
	s_delay_alu instid0(VALU_DEP_2) | instskip(NEXT) | instid1(VALU_DEP_2)
	v_cmp_ne_u32_e32 vcc_lo, 0x7f00000, v4
	v_cndmask_b32_e32 v1, 0x7e, v1, vcc_lo
; %bb.2015:
	s_and_not1_saveexec_b32 s5, s5
; %bb.2016:
	v_add_f32_e64 v1, 0x46800000, |v0|
; %bb.2017:
	s_or_b32 exec_lo, exec_lo, s5
                                        ; implicit-def: $vgpr4
.LBB14_2018:
	s_and_not1_saveexec_b32 s4, s4
; %bb.2019:
	v_mov_b32_e32 v1, 0x7f
	v_cmp_lt_u32_e32 vcc_lo, 0x7f800000, v4
	s_delay_alu instid0(VALU_DEP_2)
	v_cndmask_b32_e32 v1, 0x7e, v1, vcc_lo
; %bb.2020:
	s_or_b32 exec_lo, exec_lo, s4
	v_lshrrev_b32_e32 v4, 24, v0
	s_delay_alu instid0(VALU_DEP_1)
	v_and_or_b32 v1, 0x80, v4, v1
	global_store_b8 v[2:3], v1, off
.LBB14_2021:
	s_mov_b32 s4, 0
.LBB14_2022:
	s_delay_alu instid0(SALU_CYCLE_1)
	s_and_not1_b32 vcc_lo, exec_lo, s4
	s_cbranch_vccnz .LBB14_2032
; %bb.2023:
	s_wait_xcnt 0x0
	v_and_b32_e32 v4, 0x7fffffff, v0
	s_mov_b32 s4, exec_lo
                                        ; implicit-def: $vgpr1
	s_delay_alu instid0(VALU_DEP_1)
	v_cmpx_gt_u32_e32 0x47800000, v4
	s_xor_b32 s4, exec_lo, s4
	s_cbranch_execz .LBB14_2029
; %bb.2024:
	s_mov_b32 s5, exec_lo
                                        ; implicit-def: $vgpr1
	v_cmpx_lt_u32_e32 0x387fffff, v4
	s_xor_b32 s5, exec_lo, s5
; %bb.2025:
	v_bfe_u32 v1, v0, 21, 1
	s_delay_alu instid0(VALU_DEP_1) | instskip(NEXT) | instid1(VALU_DEP_1)
	v_add3_u32 v1, v0, v1, 0x80fffff
	v_lshrrev_b32_e32 v1, 21, v1
; %bb.2026:
	s_and_not1_saveexec_b32 s5, s5
; %bb.2027:
	v_add_f32_e64 v1, 0x43000000, |v0|
; %bb.2028:
	s_or_b32 exec_lo, exec_lo, s5
                                        ; implicit-def: $vgpr4
.LBB14_2029:
	s_and_not1_saveexec_b32 s4, s4
; %bb.2030:
	v_mov_b32_e32 v1, 0x7f
	v_cmp_lt_u32_e32 vcc_lo, 0x7f800000, v4
	s_delay_alu instid0(VALU_DEP_2)
	v_cndmask_b32_e32 v1, 0x7c, v1, vcc_lo
; %bb.2031:
	s_or_b32 exec_lo, exec_lo, s4
	v_lshrrev_b32_e32 v4, 24, v0
	s_delay_alu instid0(VALU_DEP_1)
	v_and_or_b32 v1, 0x80, v4, v1
	global_store_b8 v[2:3], v1, off
.LBB14_2032:
	s_mov_b32 s4, 0
.LBB14_2033:
	s_delay_alu instid0(SALU_CYCLE_1)
	s_and_not1_b32 vcc_lo, exec_lo, s4
	s_mov_b32 s4, 0
	s_cbranch_vccnz .LBB14_2040
; %bb.2034:
	s_cmp_gt_i32 s2, 14
	s_mov_b32 s4, -1
	s_cbranch_scc0 .LBB14_2038
; %bb.2035:
	s_cmp_eq_u32 s2, 15
	s_mov_b32 s0, -1
	s_cbranch_scc0 .LBB14_2037
; %bb.2036:
	s_wait_xcnt 0x0
	v_bfe_u32 v1, v0, 16, 1
	v_cmp_o_f32_e32 vcc_lo, v0, v0
	s_mov_b32 s0, 0
	s_delay_alu instid0(VALU_DEP_2) | instskip(NEXT) | instid1(VALU_DEP_1)
	v_add3_u32 v1, v0, v1, 0x7fff
	v_lshrrev_b32_e32 v1, 16, v1
	s_delay_alu instid0(VALU_DEP_1)
	v_cndmask_b32_e32 v1, 0x7fc0, v1, vcc_lo
	global_store_b16 v[2:3], v1, off
.LBB14_2037:
	s_mov_b32 s4, 0
.LBB14_2038:
	s_delay_alu instid0(SALU_CYCLE_1)
	s_and_b32 vcc_lo, exec_lo, s4
	s_mov_b32 s4, 0
	s_cbranch_vccz .LBB14_2040
; %bb.2039:
	s_cmp_lg_u32 s2, 11
	s_mov_b32 s4, -1
	s_cselect_b32 s0, -1, 0
.LBB14_2040:
	s_delay_alu instid0(SALU_CYCLE_1)
	s_and_b32 vcc_lo, exec_lo, s0
	s_cbranch_vccnz .LBB14_2062
.LBB14_2041:
	s_mov_b32 s0, 0
	s_branch .LBB14_1643
.LBB14_2042:
	s_mov_b32 s0, 0
	s_mov_b32 s4, 0
                                        ; implicit-def: $sgpr13
                                        ; implicit-def: $vgpr2_vgpr3
	s_branch .LBB14_1643
.LBB14_2043:
	s_mov_b32 s4, 0
	s_mov_b32 s0, -1
	s_branch .LBB14_1643
.LBB14_2044:
	s_or_b32 s1, s1, exec_lo
	s_trap 2
	s_cbranch_execz .LBB14_1510
	s_branch .LBB14_1511
.LBB14_2045:
	s_and_not1_saveexec_b32 s10, s10
	s_cbranch_execz .LBB14_1592
.LBB14_2046:
	v_add_f32_e64 v1, 0x46000000, |v2|
	s_and_not1_b32 s9, s9, exec_lo
	s_delay_alu instid0(VALU_DEP_1) | instskip(NEXT) | instid1(VALU_DEP_1)
	v_and_b32_e32 v1, 0xff, v1
	v_cmp_ne_u32_e32 vcc_lo, 0, v1
	s_and_b32 s11, vcc_lo, exec_lo
	s_delay_alu instid0(SALU_CYCLE_1)
	s_or_b32 s9, s9, s11
	s_or_b32 exec_lo, exec_lo, s10
	v_mov_b32_e32 v3, 0
	s_and_saveexec_b32 s10, s9
	s_cbranch_execnz .LBB14_1593
	s_branch .LBB14_1594
.LBB14_2047:
	s_or_b32 s1, s1, exec_lo
	s_trap 2
	s_cbranch_execz .LBB14_1640
	s_branch .LBB14_1641
.LBB14_2048:
	s_and_not1_saveexec_b32 s9, s9
	s_cbranch_execz .LBB14_1605
.LBB14_2049:
	v_add_f32_e64 v1, 0x42800000, |v2|
	s_and_not1_b32 s7, s7, exec_lo
	s_delay_alu instid0(VALU_DEP_1) | instskip(NEXT) | instid1(VALU_DEP_1)
	v_and_b32_e32 v1, 0xff, v1
	v_cmp_ne_u32_e32 vcc_lo, 0, v1
	s_and_b32 s10, vcc_lo, exec_lo
	s_delay_alu instid0(SALU_CYCLE_1)
	s_or_b32 s7, s7, s10
	s_or_b32 exec_lo, exec_lo, s9
	v_mov_b32_e32 v3, 0
	s_and_saveexec_b32 s9, s7
	s_cbranch_execnz .LBB14_1606
	s_branch .LBB14_1607
.LBB14_2050:
	s_and_not1_saveexec_b32 s10, s10
	s_cbranch_execz .LBB14_1756
.LBB14_2051:
	v_add_f32_e64 v1, 0x46000000, |v4|
	s_and_not1_b32 s9, s9, exec_lo
	s_delay_alu instid0(VALU_DEP_1) | instskip(NEXT) | instid1(VALU_DEP_1)
	v_and_b32_e32 v1, 0xff, v1
	v_cmp_ne_u32_e32 vcc_lo, 0, v1
	s_and_b32 s11, vcc_lo, exec_lo
	s_delay_alu instid0(SALU_CYCLE_1)
	s_or_b32 s9, s9, s11
	s_or_b32 exec_lo, exec_lo, s10
	v_mov_b32_e32 v3, 0
	s_and_saveexec_b32 s10, s9
	s_cbranch_execnz .LBB14_1757
	s_branch .LBB14_1758
.LBB14_2052:
	s_or_b32 s1, s1, exec_lo
	s_trap 2
	s_cbranch_execz .LBB14_1804
	s_branch .LBB14_1805
.LBB14_2053:
	s_and_not1_saveexec_b32 s9, s9
	s_cbranch_execz .LBB14_1769
.LBB14_2054:
	v_add_f32_e64 v1, 0x42800000, |v4|
	s_and_not1_b32 s8, s8, exec_lo
	s_delay_alu instid0(VALU_DEP_1) | instskip(NEXT) | instid1(VALU_DEP_1)
	v_and_b32_e32 v1, 0xff, v1
	v_cmp_ne_u32_e32 vcc_lo, 0, v1
	s_and_b32 s10, vcc_lo, exec_lo
	s_delay_alu instid0(SALU_CYCLE_1)
	s_or_b32 s8, s8, s10
	s_or_b32 exec_lo, exec_lo, s9
	v_mov_b32_e32 v3, 0
	s_and_saveexec_b32 s9, s8
	s_cbranch_execnz .LBB14_1770
	s_branch .LBB14_1771
.LBB14_2055:
	s_and_not1_saveexec_b32 s10, s10
	s_cbranch_execz .LBB14_1875
.LBB14_2056:
	v_add_f32_e64 v1, 0x46000000, |v6|
	s_and_not1_b32 s9, s9, exec_lo
	s_delay_alu instid0(VALU_DEP_1) | instskip(NEXT) | instid1(VALU_DEP_1)
	v_and_b32_e32 v1, 0xff, v1
	v_cmp_ne_u32_e32 vcc_lo, 0, v1
	s_and_b32 s11, vcc_lo, exec_lo
	s_delay_alu instid0(SALU_CYCLE_1)
	s_or_b32 s9, s9, s11
	s_or_b32 exec_lo, exec_lo, s10
	v_mov_b32_e32 v3, 0
	s_and_saveexec_b32 s10, s9
	s_cbranch_execnz .LBB14_1876
	s_branch .LBB14_1877
.LBB14_2057:
	s_or_b32 s1, s1, exec_lo
	s_trap 2
	s_cbranch_execz .LBB14_1923
	s_branch .LBB14_1924
.LBB14_2058:
	s_and_not1_saveexec_b32 s9, s9
	s_cbranch_execz .LBB14_1888
.LBB14_2059:
	v_add_f32_e64 v1, 0x42800000, |v6|
	s_and_not1_b32 s8, s8, exec_lo
	s_delay_alu instid0(VALU_DEP_1) | instskip(NEXT) | instid1(VALU_DEP_1)
	v_and_b32_e32 v1, 0xff, v1
	v_cmp_ne_u32_e32 vcc_lo, 0, v1
	s_and_b32 s10, vcc_lo, exec_lo
	s_delay_alu instid0(SALU_CYCLE_1)
	s_or_b32 s8, s8, s10
	s_or_b32 exec_lo, exec_lo, s9
	v_mov_b32_e32 v3, 0
	s_and_saveexec_b32 s9, s8
	s_cbranch_execnz .LBB14_1889
	s_branch .LBB14_1890
.LBB14_2060:
	s_and_not1_saveexec_b32 s7, s7
	s_cbranch_execz .LBB14_1995
.LBB14_2061:
	v_add_f32_e64 v1, 0x46000000, |v0|
	s_and_not1_b32 s6, s6, exec_lo
	s_delay_alu instid0(VALU_DEP_1) | instskip(NEXT) | instid1(VALU_DEP_1)
	v_and_b32_e32 v1, 0xff, v1
	v_cmp_ne_u32_e32 vcc_lo, 0, v1
	s_and_b32 s8, vcc_lo, exec_lo
	s_delay_alu instid0(SALU_CYCLE_1)
	s_or_b32 s6, s6, s8
	s_or_b32 exec_lo, exec_lo, s7
	v_mov_b32_e32 v4, 0
	s_and_saveexec_b32 s7, s6
	s_cbranch_execnz .LBB14_1996
	s_branch .LBB14_1997
.LBB14_2062:
	s_mov_b32 s4, 0
	s_or_b32 s1, s1, exec_lo
	s_trap 2
	s_branch .LBB14_2041
.LBB14_2063:
	s_and_not1_saveexec_b32 s6, s6
	s_cbranch_execz .LBB14_2007
.LBB14_2064:
	v_add_f32_e64 v1, 0x42800000, |v0|
	s_and_not1_b32 s5, s5, exec_lo
	s_delay_alu instid0(VALU_DEP_1) | instskip(NEXT) | instid1(VALU_DEP_1)
	v_and_b32_e32 v1, 0xff, v1
	v_cmp_ne_u32_e32 vcc_lo, 0, v1
	s_and_b32 s7, vcc_lo, exec_lo
	s_delay_alu instid0(SALU_CYCLE_1)
	s_or_b32 s5, s5, s7
	s_or_b32 exec_lo, exec_lo, s6
	v_mov_b32_e32 v4, 0
	s_and_saveexec_b32 s6, s5
	s_cbranch_execnz .LBB14_2008
	s_branch .LBB14_2009
	.section	.rodata,"a",@progbits
	.p2align	6, 0x0
	.amdhsa_kernel _ZN2at6native32elementwise_kernel_manual_unrollILi128ELi4EZNS0_15gpu_kernel_implIZZZNS0_12_GLOBAL__N_124renorm_scale_factor_implERNS_18TensorIteratorBaseEdENKUlvE_clEvENKUlvE0_clEvEUlfE_EEvS5_RKT_EUlibE_EEviT1_
		.amdhsa_group_segment_fixed_size 0
		.amdhsa_private_segment_fixed_size 0
		.amdhsa_kernarg_size 40
		.amdhsa_user_sgpr_count 2
		.amdhsa_user_sgpr_dispatch_ptr 0
		.amdhsa_user_sgpr_queue_ptr 0
		.amdhsa_user_sgpr_kernarg_segment_ptr 1
		.amdhsa_user_sgpr_dispatch_id 0
		.amdhsa_user_sgpr_kernarg_preload_length 0
		.amdhsa_user_sgpr_kernarg_preload_offset 0
		.amdhsa_user_sgpr_private_segment_size 0
		.amdhsa_wavefront_size32 1
		.amdhsa_uses_dynamic_stack 0
		.amdhsa_enable_private_segment 0
		.amdhsa_system_sgpr_workgroup_id_x 1
		.amdhsa_system_sgpr_workgroup_id_y 0
		.amdhsa_system_sgpr_workgroup_id_z 0
		.amdhsa_system_sgpr_workgroup_info 0
		.amdhsa_system_vgpr_workitem_id 0
		.amdhsa_next_free_vgpr 16
		.amdhsa_next_free_sgpr 27
		.amdhsa_named_barrier_count 0
		.amdhsa_reserve_vcc 1
		.amdhsa_float_round_mode_32 0
		.amdhsa_float_round_mode_16_64 0
		.amdhsa_float_denorm_mode_32 3
		.amdhsa_float_denorm_mode_16_64 3
		.amdhsa_fp16_overflow 0
		.amdhsa_memory_ordered 1
		.amdhsa_forward_progress 1
		.amdhsa_inst_pref_size 255
		.amdhsa_round_robin_scheduling 0
		.amdhsa_exception_fp_ieee_invalid_op 0
		.amdhsa_exception_fp_denorm_src 0
		.amdhsa_exception_fp_ieee_div_zero 0
		.amdhsa_exception_fp_ieee_overflow 0
		.amdhsa_exception_fp_ieee_underflow 0
		.amdhsa_exception_fp_ieee_inexact 0
		.amdhsa_exception_int_div_zero 0
	.end_amdhsa_kernel
	.section	.text._ZN2at6native32elementwise_kernel_manual_unrollILi128ELi4EZNS0_15gpu_kernel_implIZZZNS0_12_GLOBAL__N_124renorm_scale_factor_implERNS_18TensorIteratorBaseEdENKUlvE_clEvENKUlvE0_clEvEUlfE_EEvS5_RKT_EUlibE_EEviT1_,"axG",@progbits,_ZN2at6native32elementwise_kernel_manual_unrollILi128ELi4EZNS0_15gpu_kernel_implIZZZNS0_12_GLOBAL__N_124renorm_scale_factor_implERNS_18TensorIteratorBaseEdENKUlvE_clEvENKUlvE0_clEvEUlfE_EEvS5_RKT_EUlibE_EEviT1_,comdat
.Lfunc_end14:
	.size	_ZN2at6native32elementwise_kernel_manual_unrollILi128ELi4EZNS0_15gpu_kernel_implIZZZNS0_12_GLOBAL__N_124renorm_scale_factor_implERNS_18TensorIteratorBaseEdENKUlvE_clEvENKUlvE0_clEvEUlfE_EEvS5_RKT_EUlibE_EEviT1_, .Lfunc_end14-_ZN2at6native32elementwise_kernel_manual_unrollILi128ELi4EZNS0_15gpu_kernel_implIZZZNS0_12_GLOBAL__N_124renorm_scale_factor_implERNS_18TensorIteratorBaseEdENKUlvE_clEvENKUlvE0_clEvEUlfE_EEvS5_RKT_EUlibE_EEviT1_
                                        ; -- End function
	.set _ZN2at6native32elementwise_kernel_manual_unrollILi128ELi4EZNS0_15gpu_kernel_implIZZZNS0_12_GLOBAL__N_124renorm_scale_factor_implERNS_18TensorIteratorBaseEdENKUlvE_clEvENKUlvE0_clEvEUlfE_EEvS5_RKT_EUlibE_EEviT1_.num_vgpr, 16
	.set _ZN2at6native32elementwise_kernel_manual_unrollILi128ELi4EZNS0_15gpu_kernel_implIZZZNS0_12_GLOBAL__N_124renorm_scale_factor_implERNS_18TensorIteratorBaseEdENKUlvE_clEvENKUlvE0_clEvEUlfE_EEvS5_RKT_EUlibE_EEviT1_.num_agpr, 0
	.set _ZN2at6native32elementwise_kernel_manual_unrollILi128ELi4EZNS0_15gpu_kernel_implIZZZNS0_12_GLOBAL__N_124renorm_scale_factor_implERNS_18TensorIteratorBaseEdENKUlvE_clEvENKUlvE0_clEvEUlfE_EEvS5_RKT_EUlibE_EEviT1_.numbered_sgpr, 27
	.set _ZN2at6native32elementwise_kernel_manual_unrollILi128ELi4EZNS0_15gpu_kernel_implIZZZNS0_12_GLOBAL__N_124renorm_scale_factor_implERNS_18TensorIteratorBaseEdENKUlvE_clEvENKUlvE0_clEvEUlfE_EEvS5_RKT_EUlibE_EEviT1_.num_named_barrier, 0
	.set _ZN2at6native32elementwise_kernel_manual_unrollILi128ELi4EZNS0_15gpu_kernel_implIZZZNS0_12_GLOBAL__N_124renorm_scale_factor_implERNS_18TensorIteratorBaseEdENKUlvE_clEvENKUlvE0_clEvEUlfE_EEvS5_RKT_EUlibE_EEviT1_.private_seg_size, 0
	.set _ZN2at6native32elementwise_kernel_manual_unrollILi128ELi4EZNS0_15gpu_kernel_implIZZZNS0_12_GLOBAL__N_124renorm_scale_factor_implERNS_18TensorIteratorBaseEdENKUlvE_clEvENKUlvE0_clEvEUlfE_EEvS5_RKT_EUlibE_EEviT1_.uses_vcc, 1
	.set _ZN2at6native32elementwise_kernel_manual_unrollILi128ELi4EZNS0_15gpu_kernel_implIZZZNS0_12_GLOBAL__N_124renorm_scale_factor_implERNS_18TensorIteratorBaseEdENKUlvE_clEvENKUlvE0_clEvEUlfE_EEvS5_RKT_EUlibE_EEviT1_.uses_flat_scratch, 0
	.set _ZN2at6native32elementwise_kernel_manual_unrollILi128ELi4EZNS0_15gpu_kernel_implIZZZNS0_12_GLOBAL__N_124renorm_scale_factor_implERNS_18TensorIteratorBaseEdENKUlvE_clEvENKUlvE0_clEvEUlfE_EEvS5_RKT_EUlibE_EEviT1_.has_dyn_sized_stack, 0
	.set _ZN2at6native32elementwise_kernel_manual_unrollILi128ELi4EZNS0_15gpu_kernel_implIZZZNS0_12_GLOBAL__N_124renorm_scale_factor_implERNS_18TensorIteratorBaseEdENKUlvE_clEvENKUlvE0_clEvEUlfE_EEvS5_RKT_EUlibE_EEviT1_.has_recursion, 0
	.set _ZN2at6native32elementwise_kernel_manual_unrollILi128ELi4EZNS0_15gpu_kernel_implIZZZNS0_12_GLOBAL__N_124renorm_scale_factor_implERNS_18TensorIteratorBaseEdENKUlvE_clEvENKUlvE0_clEvEUlfE_EEvS5_RKT_EUlibE_EEviT1_.has_indirect_call, 0
	.section	.AMDGPU.csdata,"",@progbits
; Kernel info:
; codeLenInByte = 38308
; TotalNumSgprs: 29
; NumVgprs: 16
; ScratchSize: 0
; MemoryBound: 1
; FloatMode: 240
; IeeeMode: 1
; LDSByteSize: 0 bytes/workgroup (compile time only)
; SGPRBlocks: 0
; VGPRBlocks: 0
; NumSGPRsForWavesPerEU: 29
; NumVGPRsForWavesPerEU: 16
; NamedBarCnt: 0
; Occupancy: 16
; WaveLimiterHint : 0
; COMPUTE_PGM_RSRC2:SCRATCH_EN: 0
; COMPUTE_PGM_RSRC2:USER_SGPR: 2
; COMPUTE_PGM_RSRC2:TRAP_HANDLER: 0
; COMPUTE_PGM_RSRC2:TGID_X_EN: 1
; COMPUTE_PGM_RSRC2:TGID_Y_EN: 0
; COMPUTE_PGM_RSRC2:TGID_Z_EN: 0
; COMPUTE_PGM_RSRC2:TIDIG_COMP_CNT: 0
	.section	.text._ZN2at6native32elementwise_kernel_manual_unrollILi128ELi4EZNS0_15gpu_kernel_implIZZZNS0_12_GLOBAL__N_124renorm_scale_factor_implERNS_18TensorIteratorBaseEdENKUlvE_clEvENKUlvE0_clEvEUlfE_EEvS5_RKT_EUlibE0_EEviT1_,"axG",@progbits,_ZN2at6native32elementwise_kernel_manual_unrollILi128ELi4EZNS0_15gpu_kernel_implIZZZNS0_12_GLOBAL__N_124renorm_scale_factor_implERNS_18TensorIteratorBaseEdENKUlvE_clEvENKUlvE0_clEvEUlfE_EEvS5_RKT_EUlibE0_EEviT1_,comdat
	.globl	_ZN2at6native32elementwise_kernel_manual_unrollILi128ELi4EZNS0_15gpu_kernel_implIZZZNS0_12_GLOBAL__N_124renorm_scale_factor_implERNS_18TensorIteratorBaseEdENKUlvE_clEvENKUlvE0_clEvEUlfE_EEvS5_RKT_EUlibE0_EEviT1_ ; -- Begin function _ZN2at6native32elementwise_kernel_manual_unrollILi128ELi4EZNS0_15gpu_kernel_implIZZZNS0_12_GLOBAL__N_124renorm_scale_factor_implERNS_18TensorIteratorBaseEdENKUlvE_clEvENKUlvE0_clEvEUlfE_EEvS5_RKT_EUlibE0_EEviT1_
	.p2align	8
	.type	_ZN2at6native32elementwise_kernel_manual_unrollILi128ELi4EZNS0_15gpu_kernel_implIZZZNS0_12_GLOBAL__N_124renorm_scale_factor_implERNS_18TensorIteratorBaseEdENKUlvE_clEvENKUlvE0_clEvEUlfE_EEvS5_RKT_EUlibE0_EEviT1_,@function
_ZN2at6native32elementwise_kernel_manual_unrollILi128ELi4EZNS0_15gpu_kernel_implIZZZNS0_12_GLOBAL__N_124renorm_scale_factor_implERNS_18TensorIteratorBaseEdENKUlvE_clEvENKUlvE0_clEvEUlfE_EEvS5_RKT_EUlibE0_EEviT1_: ; @_ZN2at6native32elementwise_kernel_manual_unrollILi128ELi4EZNS0_15gpu_kernel_implIZZZNS0_12_GLOBAL__N_124renorm_scale_factor_implERNS_18TensorIteratorBaseEdENKUlvE_clEvENKUlvE0_clEvEUlfE_EEvS5_RKT_EUlibE0_EEviT1_
; %bb.0:
	s_clause 0x1
	s_load_b32 s30, s[0:1], 0x8
	s_load_b32 s37, s[0:1], 0x0
	s_bfe_u32 s2, ttmp6, 0x4000c
	s_and_b32 s3, ttmp6, 15
	s_add_co_i32 s2, s2, 1
	s_getreg_b32 s4, hwreg(HW_REG_IB_STS2, 6, 4)
	s_mul_i32 s2, ttmp9, s2
	s_mov_b32 s33, 0
	s_add_co_i32 s3, s3, s2
	s_cmp_eq_u32 s4, 0
	s_mov_b32 s25, -1
	s_cselect_b32 s2, ttmp9, s3
	s_mov_b32 s8, 0
	v_lshl_or_b32 v0, s2, 9, v0
	s_add_nc_u64 s[2:3], s[0:1], 8
	s_wait_xcnt 0x0
	s_mov_b32 s0, exec_lo
	s_delay_alu instid0(VALU_DEP_1) | instskip(SKIP_2) | instid1(SALU_CYCLE_1)
	v_or_b32_e32 v9, 0x180, v0
	s_wait_kmcnt 0x0
	s_add_co_i32 s31, s30, -1
	s_cmp_gt_u32 s31, 1
	s_cselect_b32 s34, -1, 0
	v_cmpx_le_i32_e64 s37, v9
	s_xor_b32 s35, exec_lo, s0
	s_cbranch_execz .LBB15_1104
; %bb.1:
	s_clause 0x4
	s_load_b128 s[8:11], s[2:3], 0x4
	s_load_b64 s[0:1], s[2:3], 0x14
	s_load_b64 s[16:17], s[2:3], 0x158
	s_load_b128 s[12:15], s[2:3], 0xc4
	s_load_b128 s[4:7], s[2:3], 0x148
	s_cmp_lg_u32 s30, 0
	s_mov_b32 s19, 0
	s_cselect_b32 s39, -1, 0
	s_min_u32 s38, s31, 15
	s_cmp_gt_u32 s30, 1
	s_add_nc_u64 s[22:23], s[2:3], 0xc4
	s_mov_b32 s21, s19
	s_mov_b32 s41, s19
	s_cselect_b32 s36, -1, 0
	s_mov_b32 s40, s19
	s_mov_b32 s42, exec_lo
	s_wait_kmcnt 0x0
	s_mov_b32 s18, s9
	s_mov_b32 s20, s0
	s_bfe_u32 s9, s17, 0x80008
	v_cmpx_gt_i32_e64 s37, v0
	s_cbranch_execz .LBB15_269
; %bb.2:
	s_and_not1_b32 vcc_lo, exec_lo, s34
	s_cbranch_vccnz .LBB15_8
; %bb.3:
	s_and_not1_b32 vcc_lo, exec_lo, s39
	s_cbranch_vccnz .LBB15_9
; %bb.4:
	s_add_co_i32 s0, s38, 1
	s_cmp_eq_u32 s31, 2
	s_cbranch_scc1 .LBB15_10
; %bb.5:
	v_dual_mov_b32 v2, 0 :: v_dual_mov_b32 v4, 0
	v_mov_b32_e32 v1, v0
	s_and_b32 s24, s0, 28
	s_mov_b32 s25, 0
	s_mov_b64 s[26:27], s[2:3]
	s_mov_b64 s[28:29], s[22:23]
.LBB15_6:                               ; =>This Inner Loop Header: Depth=1
	s_clause 0x1
	s_load_b256 s[44:51], s[26:27], 0x4
	s_load_b128 s[60:63], s[26:27], 0x24
	s_load_b256 s[52:59], s[28:29], 0x0
	s_add_co_i32 s25, s25, 4
	s_wait_xcnt 0x0
	s_add_nc_u64 s[26:27], s[26:27], 48
	s_cmp_lg_u32 s24, s25
	s_add_nc_u64 s[28:29], s[28:29], 32
	s_wait_kmcnt 0x0
	v_mul_hi_u32 v3, s45, v1
	s_delay_alu instid0(VALU_DEP_1) | instskip(NEXT) | instid1(VALU_DEP_1)
	v_add_nc_u32_e32 v3, v1, v3
	v_lshrrev_b32_e32 v3, s46, v3
	s_delay_alu instid0(VALU_DEP_1) | instskip(NEXT) | instid1(VALU_DEP_1)
	v_mul_hi_u32 v5, s48, v3
	v_add_nc_u32_e32 v5, v3, v5
	s_delay_alu instid0(VALU_DEP_1) | instskip(NEXT) | instid1(VALU_DEP_1)
	v_lshrrev_b32_e32 v5, s49, v5
	v_mul_hi_u32 v6, s51, v5
	s_delay_alu instid0(VALU_DEP_1) | instskip(SKIP_1) | instid1(VALU_DEP_1)
	v_add_nc_u32_e32 v6, v5, v6
	v_mul_lo_u32 v7, v3, s44
	v_sub_nc_u32_e32 v1, v1, v7
	v_mul_lo_u32 v7, v5, s47
	s_delay_alu instid0(VALU_DEP_4) | instskip(NEXT) | instid1(VALU_DEP_3)
	v_lshrrev_b32_e32 v6, s60, v6
	v_mad_u32 v4, v1, s53, v4
	v_mad_u32 v1, v1, s52, v2
	s_delay_alu instid0(VALU_DEP_4) | instskip(NEXT) | instid1(VALU_DEP_4)
	v_sub_nc_u32_e32 v2, v3, v7
	v_mul_hi_u32 v8, s62, v6
	v_mul_lo_u32 v3, v6, s50
	s_delay_alu instid0(VALU_DEP_3) | instskip(SKIP_1) | instid1(VALU_DEP_3)
	v_mad_u32 v4, v2, s55, v4
	v_mad_u32 v2, v2, s54, v1
	v_dual_add_nc_u32 v7, v6, v8 :: v_dual_sub_nc_u32 v3, v5, v3
	s_delay_alu instid0(VALU_DEP_1) | instskip(NEXT) | instid1(VALU_DEP_2)
	v_lshrrev_b32_e32 v1, s63, v7
	v_mad_u32 v4, v3, s57, v4
	s_delay_alu instid0(VALU_DEP_4) | instskip(NEXT) | instid1(VALU_DEP_3)
	v_mad_u32 v2, v3, s56, v2
	v_mul_lo_u32 v5, v1, s61
	s_delay_alu instid0(VALU_DEP_1) | instskip(NEXT) | instid1(VALU_DEP_1)
	v_sub_nc_u32_e32 v3, v6, v5
	v_mad_u32 v4, v3, s59, v4
	s_delay_alu instid0(VALU_DEP_4)
	v_mad_u32 v2, v3, s58, v2
	s_cbranch_scc1 .LBB15_6
; %bb.7:
	s_delay_alu instid0(VALU_DEP_2)
	v_mov_b32_e32 v3, v4
	s_and_b32 s0, s0, 3
	s_mov_b32 s25, 0
	s_cmp_eq_u32 s0, 0
	s_cbranch_scc0 .LBB15_11
	s_branch .LBB15_14
.LBB15_8:
                                        ; implicit-def: $vgpr4
                                        ; implicit-def: $vgpr2
	s_branch .LBB15_15
.LBB15_9:
	v_dual_mov_b32 v4, 0 :: v_dual_mov_b32 v2, 0
	s_branch .LBB15_14
.LBB15_10:
	v_mov_b64_e32 v[2:3], 0
	v_mov_b32_e32 v1, v0
	s_mov_b32 s24, 0
                                        ; implicit-def: $vgpr4
	s_and_b32 s0, s0, 3
	s_mov_b32 s25, 0
	s_cmp_eq_u32 s0, 0
	s_cbranch_scc1 .LBB15_14
.LBB15_11:
	s_lshl_b32 s26, s24, 3
	s_mov_b32 s27, s25
	s_mul_u64 s[28:29], s[24:25], 12
	s_add_nc_u64 s[26:27], s[2:3], s[26:27]
	s_delay_alu instid0(SALU_CYCLE_1)
	s_add_nc_u64 s[24:25], s[26:27], 0xc4
	s_add_nc_u64 s[26:27], s[2:3], s[28:29]
.LBB15_12:                              ; =>This Inner Loop Header: Depth=1
	s_load_b96 s[44:46], s[26:27], 0x4
	s_load_b64 s[28:29], s[24:25], 0x0
	s_add_co_i32 s0, s0, -1
	s_wait_xcnt 0x0
	s_add_nc_u64 s[26:27], s[26:27], 12
	s_cmp_lg_u32 s0, 0
	s_add_nc_u64 s[24:25], s[24:25], 8
	s_wait_kmcnt 0x0
	v_mul_hi_u32 v4, s45, v1
	s_delay_alu instid0(VALU_DEP_1) | instskip(NEXT) | instid1(VALU_DEP_1)
	v_add_nc_u32_e32 v4, v1, v4
	v_lshrrev_b32_e32 v4, s46, v4
	s_delay_alu instid0(VALU_DEP_1) | instskip(NEXT) | instid1(VALU_DEP_1)
	v_mul_lo_u32 v5, v4, s44
	v_sub_nc_u32_e32 v1, v1, v5
	s_delay_alu instid0(VALU_DEP_1)
	v_mad_u32 v3, v1, s29, v3
	v_mad_u32 v2, v1, s28, v2
	v_mov_b32_e32 v1, v4
	s_cbranch_scc1 .LBB15_12
; %bb.13:
	s_delay_alu instid0(VALU_DEP_3)
	v_mov_b32_e32 v4, v3
.LBB15_14:
	s_cbranch_execnz .LBB15_17
.LBB15_15:
	v_mov_b32_e32 v1, 0
	s_and_not1_b32 vcc_lo, exec_lo, s36
	s_delay_alu instid0(VALU_DEP_1) | instskip(NEXT) | instid1(VALU_DEP_1)
	v_mul_u64_e32 v[2:3], s[18:19], v[0:1]
	v_add_nc_u32_e32 v2, v0, v3
	s_delay_alu instid0(VALU_DEP_1) | instskip(NEXT) | instid1(VALU_DEP_1)
	v_lshrrev_b32_e32 v6, s10, v2
	v_mul_lo_u32 v2, v6, s8
	s_delay_alu instid0(VALU_DEP_1) | instskip(NEXT) | instid1(VALU_DEP_1)
	v_sub_nc_u32_e32 v2, v0, v2
	v_mul_lo_u32 v4, v2, s13
	v_mul_lo_u32 v2, v2, s12
	s_cbranch_vccnz .LBB15_17
; %bb.16:
	v_mov_b32_e32 v7, v1
	s_delay_alu instid0(VALU_DEP_1) | instskip(NEXT) | instid1(VALU_DEP_1)
	v_mul_u64_e32 v[8:9], s[20:21], v[6:7]
	v_add_nc_u32_e32 v1, v6, v9
	s_delay_alu instid0(VALU_DEP_1) | instskip(NEXT) | instid1(VALU_DEP_1)
	v_lshrrev_b32_e32 v1, s1, v1
	v_mul_lo_u32 v1, v1, s11
	s_delay_alu instid0(VALU_DEP_1) | instskip(NEXT) | instid1(VALU_DEP_1)
	v_sub_nc_u32_e32 v1, v6, v1
	v_mad_u32 v2, v1, s14, v2
	v_mad_u32 v4, v1, s15, v4
.LBB15_17:
	v_mov_b32_e32 v5, 0
	s_and_b32 s0, 0xffff, s9
	s_delay_alu instid0(SALU_CYCLE_1) | instskip(NEXT) | instid1(VALU_DEP_1)
	s_cmp_lt_i32 s0, 11
	v_add_nc_u64_e32 v[4:5], s[6:7], v[4:5]
	s_cbranch_scc1 .LBB15_24
; %bb.18:
	s_cmp_gt_i32 s0, 25
	s_cbranch_scc0 .LBB15_35
; %bb.19:
	s_cmp_gt_i32 s0, 28
	s_cbranch_scc0 .LBB15_38
	;; [unrolled: 3-line block ×4, first 2 shown]
; %bb.22:
	s_cmp_eq_u32 s0, 46
	s_mov_b32 s26, 0
	s_cbranch_scc0 .LBB15_44
; %bb.23:
	global_load_b32 v1, v[4:5], off
	s_mov_b32 s25, -1
	s_mov_b32 s24, 0
	s_wait_loadcnt 0x0
	v_lshlrev_b32_e32 v1, 16, v1
	s_branch .LBB15_46
.LBB15_24:
	s_mov_b32 s24, 0
	s_mov_b32 s25, 0
                                        ; implicit-def: $vgpr1
	s_cbranch_execnz .LBB15_219
.LBB15_25:
	s_and_not1_b32 vcc_lo, exec_lo, s25
	s_cbranch_vccnz .LBB15_266
.LBB15_26:
	s_wait_xcnt 0x0
	v_mov_b32_e32 v4, 1.0
	s_mov_b32 s0, exec_lo
	s_wait_loadcnt 0x0
	s_delay_alu instid0(VALU_DEP_2)
	v_cmpx_lt_f32_e32 s16, v1
	s_cbranch_execz .LBB15_28
; %bb.27:
	v_add_f32_e32 v1, 0x33d6bf95, v1
	s_delay_alu instid0(VALU_DEP_1) | instskip(NEXT) | instid1(VALU_DEP_1)
	v_div_scale_f32 v3, null, v1, v1, s16
	v_rcp_f32_e32 v4, v3
	v_nop
	s_delay_alu instid0(TRANS32_DEP_1) | instskip(NEXT) | instid1(VALU_DEP_1)
	v_fma_f32 v5, -v3, v4, 1.0
	v_fmac_f32_e32 v4, v5, v4
	v_div_scale_f32 v5, vcc_lo, s16, v1, s16
	s_delay_alu instid0(VALU_DEP_1) | instskip(NEXT) | instid1(VALU_DEP_1)
	v_mul_f32_e32 v6, v5, v4
	v_fma_f32 v7, -v3, v6, v5
	s_delay_alu instid0(VALU_DEP_1) | instskip(NEXT) | instid1(VALU_DEP_1)
	v_fmac_f32_e32 v6, v7, v4
	v_fma_f32 v3, -v3, v6, v5
	s_delay_alu instid0(VALU_DEP_1) | instskip(NEXT) | instid1(VALU_DEP_1)
	v_div_fmas_f32 v3, v3, v4, v6
	v_div_fixup_f32 v4, v3, v1, s16
.LBB15_28:
	s_or_b32 exec_lo, exec_lo, s0
	v_mov_b32_e32 v3, 0
	s_and_b32 s25, s17, 0xff
	s_delay_alu instid0(SALU_CYCLE_1) | instskip(NEXT) | instid1(VALU_DEP_1)
	s_cmp_lt_i32 s25, 11
	v_add_nc_u64_e32 v[2:3], s[4:5], v[2:3]
	s_cbranch_scc1 .LBB15_36
; %bb.29:
	s_and_b32 s26, 0xffff, s25
	s_delay_alu instid0(SALU_CYCLE_1)
	s_cmp_gt_i32 s26, 25
	s_cbranch_scc0 .LBB15_39
; %bb.30:
	s_cmp_gt_i32 s26, 28
	s_cbranch_scc0 .LBB15_41
; %bb.31:
	;; [unrolled: 3-line block ×4, first 2 shown]
	s_mov_b32 s28, 0
	s_mov_b32 s0, -1
	s_cmp_eq_u32 s26, 46
	s_mov_b32 s27, 0
	s_cbranch_scc0 .LBB15_50
; %bb.34:
	v_bfe_u32 v1, v4, 16, 1
	v_cmp_o_f32_e32 vcc_lo, v4, v4
	s_mov_b32 s27, -1
	s_mov_b32 s0, 0
	s_delay_alu instid0(VALU_DEP_2) | instskip(NEXT) | instid1(VALU_DEP_1)
	v_add3_u32 v1, v4, v1, 0x7fff
	v_lshrrev_b32_e32 v1, 16, v1
	s_delay_alu instid0(VALU_DEP_1)
	v_cndmask_b32_e32 v1, 0x7fc0, v1, vcc_lo
	global_store_b32 v[2:3], v1, off
	s_branch .LBB15_50
.LBB15_35:
	s_mov_b32 s24, 0
	s_mov_b32 s25, 0
                                        ; implicit-def: $vgpr1
	s_cbranch_execnz .LBB15_184
	s_branch .LBB15_218
.LBB15_36:
	s_mov_b32 s0, 0
	s_mov_b32 s27, 0
	s_cbranch_execnz .LBB15_119
.LBB15_37:
	s_and_not1_b32 vcc_lo, exec_lo, s27
	s_cbranch_vccz .LBB15_157
	s_branch .LBB15_267
.LBB15_38:
	s_mov_b32 s26, -1
	s_mov_b32 s24, 0
	s_mov_b32 s25, 0
                                        ; implicit-def: $vgpr1
	s_branch .LBB15_165
.LBB15_39:
	s_mov_b32 s28, -1
	s_mov_b32 s0, 0
	s_mov_b32 s27, 0
	s_branch .LBB15_77
.LBB15_40:
	s_mov_b32 s26, -1
	s_mov_b32 s24, 0
	s_mov_b32 s25, 0
                                        ; implicit-def: $vgpr1
	s_branch .LBB15_160
.LBB15_41:
	s_mov_b32 s28, -1
	s_mov_b32 s0, 0
	s_mov_b32 s27, 0
	s_branch .LBB15_60
.LBB15_42:
	s_mov_b32 s26, -1
	s_mov_b32 s24, 0
	s_branch .LBB15_45
.LBB15_43:
	s_mov_b32 s28, -1
	s_mov_b32 s0, 0
	s_mov_b32 s27, 0
	s_branch .LBB15_56
.LBB15_44:
	s_mov_b32 s24, -1
.LBB15_45:
	s_mov_b32 s25, 0
                                        ; implicit-def: $vgpr1
.LBB15_46:
	s_and_b32 vcc_lo, exec_lo, s26
	s_cbranch_vccz .LBB15_159
; %bb.47:
	s_cmp_eq_u32 s0, 44
	s_cbranch_scc0 .LBB15_158
; %bb.48:
	global_load_u8 v1, v[4:5], off
	s_mov_b32 s24, 0
	s_mov_b32 s25, -1
	s_wait_loadcnt 0x0
	v_lshlrev_b32_e32 v3, 23, v1
	v_cmp_ne_u32_e32 vcc_lo, 0xff, v1
	s_delay_alu instid0(VALU_DEP_2) | instskip(SKIP_1) | instid1(VALU_DEP_2)
	v_cndmask_b32_e32 v3, 0x7f800001, v3, vcc_lo
	v_cmp_ne_u32_e32 vcc_lo, 0, v1
	v_cndmask_b32_e32 v1, 0x400000, v3, vcc_lo
	s_branch .LBB15_159
.LBB15_49:
	s_mov_b32 s28, -1
	s_mov_b32 s0, 0
	s_mov_b32 s27, 0
.LBB15_50:
	s_and_b32 vcc_lo, exec_lo, s28
	s_cbranch_vccz .LBB15_55
; %bb.51:
	s_cmp_eq_u32 s26, 44
	s_mov_b32 s0, -1
	s_cbranch_scc0 .LBB15_55
; %bb.52:
	v_bfe_u32 v5, v4, 23, 8
	s_wait_xcnt 0x0
	v_mov_b32_e32 v1, 0xff
	s_mov_b32 s27, exec_lo
	s_delay_alu instid0(VALU_DEP_2)
	v_cmpx_ne_u32_e32 0xff, v5
	s_cbranch_execz .LBB15_54
; %bb.53:
	v_and_b32_e32 v1, 0x400000, v4
	v_and_or_b32 v5, 0x3fffff, v4, v5
	s_delay_alu instid0(VALU_DEP_2) | instskip(NEXT) | instid1(VALU_DEP_2)
	v_cmp_ne_u32_e32 vcc_lo, 0, v1
	v_cmp_ne_u32_e64 s0, 0, v5
	v_lshrrev_b32_e32 v1, 23, v4
	s_and_b32 s0, vcc_lo, s0
	s_delay_alu instid0(SALU_CYCLE_1) | instskip(NEXT) | instid1(VALU_DEP_1)
	v_cndmask_b32_e64 v5, 0, 1, s0
	v_add_nc_u32_e32 v1, v1, v5
.LBB15_54:
	s_or_b32 exec_lo, exec_lo, s27
	s_mov_b32 s27, -1
	s_mov_b32 s0, 0
	global_store_b8 v[2:3], v1, off
.LBB15_55:
	s_mov_b32 s28, 0
.LBB15_56:
	s_delay_alu instid0(SALU_CYCLE_1)
	s_and_b32 vcc_lo, exec_lo, s28
	s_cbranch_vccz .LBB15_59
; %bb.57:
	s_cmp_eq_u32 s26, 29
	s_mov_b32 s0, -1
	s_cbranch_scc0 .LBB15_59
; %bb.58:
	s_wait_xcnt 0x0
	v_trunc_f32_e32 v1, v4
	s_mov_b32 s27, -1
	s_mov_b32 s0, 0
	s_mov_b32 s28, 0
	s_delay_alu instid0(VALU_DEP_1) | instskip(NEXT) | instid1(VALU_DEP_1)
	v_mul_f32_e32 v5, 0x2f800000, v1
	v_floor_f32_e32 v5, v5
	s_delay_alu instid0(VALU_DEP_1) | instskip(SKIP_1) | instid1(VALU_DEP_2)
	v_fmamk_f32 v1, v5, 0xcf800000, v1
	v_cvt_u32_f32_e32 v7, v5
	v_cvt_u32_f32_e32 v6, v1
	global_store_b64 v[2:3], v[6:7], off
	s_branch .LBB15_60
.LBB15_59:
	s_mov_b32 s28, 0
.LBB15_60:
	s_delay_alu instid0(SALU_CYCLE_1)
	s_and_b32 vcc_lo, exec_lo, s28
	s_cbranch_vccz .LBB15_76
; %bb.61:
	s_cmp_lt_i32 s26, 27
	s_mov_b32 s27, -1
	s_cbranch_scc1 .LBB15_67
; %bb.62:
	s_wait_xcnt 0x0
	v_cvt_u32_f32_e32 v1, v4
	s_cmp_gt_i32 s26, 27
	s_cbranch_scc0 .LBB15_64
; %bb.63:
	s_mov_b32 s27, 0
	global_store_b32 v[2:3], v1, off
.LBB15_64:
	s_and_not1_b32 vcc_lo, exec_lo, s27
	s_cbranch_vccnz .LBB15_66
; %bb.65:
	global_store_b16 v[2:3], v1, off
.LBB15_66:
	s_mov_b32 s27, 0
.LBB15_67:
	s_delay_alu instid0(SALU_CYCLE_1)
	s_and_not1_b32 vcc_lo, exec_lo, s27
	s_cbranch_vccnz .LBB15_75
; %bb.68:
	s_wait_xcnt 0x0
	v_and_b32_e32 v1, 0x7fffffff, v4
	v_mov_b32_e32 v5, 0x80
	s_mov_b32 s27, exec_lo
	s_delay_alu instid0(VALU_DEP_2)
	v_cmpx_gt_u32_e32 0x43800000, v1
	s_cbranch_execz .LBB15_74
; %bb.69:
	v_cmp_lt_u32_e32 vcc_lo, 0x3bffffff, v1
	s_mov_b32 s28, 0
                                        ; implicit-def: $vgpr1
	s_and_saveexec_b32 s29, vcc_lo
	s_delay_alu instid0(SALU_CYCLE_1)
	s_xor_b32 s29, exec_lo, s29
	s_cbranch_execz .LBB15_314
; %bb.70:
	v_bfe_u32 v1, v4, 20, 1
	s_mov_b32 s28, exec_lo
	s_delay_alu instid0(VALU_DEP_1) | instskip(NEXT) | instid1(VALU_DEP_1)
	v_add3_u32 v1, v4, v1, 0x487ffff
	v_lshrrev_b32_e32 v1, 20, v1
	s_and_not1_saveexec_b32 s29, s29
	s_cbranch_execnz .LBB15_315
.LBB15_71:
	s_or_b32 exec_lo, exec_lo, s29
	v_mov_b32_e32 v5, 0
	s_and_saveexec_b32 s29, s28
.LBB15_72:
	v_lshrrev_b32_e32 v5, 24, v4
	s_delay_alu instid0(VALU_DEP_1)
	v_and_or_b32 v5, 0x80, v5, v1
.LBB15_73:
	s_or_b32 exec_lo, exec_lo, s29
.LBB15_74:
	s_delay_alu instid0(SALU_CYCLE_1)
	s_or_b32 exec_lo, exec_lo, s27
	global_store_b8 v[2:3], v5, off
.LBB15_75:
	s_mov_b32 s27, -1
.LBB15_76:
	s_mov_b32 s28, 0
.LBB15_77:
	s_delay_alu instid0(SALU_CYCLE_1)
	s_and_b32 vcc_lo, exec_lo, s28
	s_cbranch_vccz .LBB15_118
; %bb.78:
	s_cmp_gt_i32 s26, 22
	s_mov_b32 s28, -1
	s_cbranch_scc0 .LBB15_110
; %bb.79:
	s_cmp_lt_i32 s26, 24
	s_mov_b32 s27, -1
	s_cbranch_scc1 .LBB15_99
; %bb.80:
	s_cmp_gt_i32 s26, 24
	s_cbranch_scc0 .LBB15_88
; %bb.81:
	s_wait_xcnt 0x0
	v_and_b32_e32 v1, 0x7fffffff, v4
	v_mov_b32_e32 v5, 0x80
	s_mov_b32 s27, exec_lo
	s_delay_alu instid0(VALU_DEP_2)
	v_cmpx_gt_u32_e32 0x47800000, v1
	s_cbranch_execz .LBB15_87
; %bb.82:
	v_cmp_lt_u32_e32 vcc_lo, 0x37ffffff, v1
	s_mov_b32 s28, 0
                                        ; implicit-def: $vgpr1
	s_and_saveexec_b32 s29, vcc_lo
	s_delay_alu instid0(SALU_CYCLE_1)
	s_xor_b32 s29, exec_lo, s29
	s_cbranch_execz .LBB15_318
; %bb.83:
	v_bfe_u32 v1, v4, 21, 1
	s_mov_b32 s28, exec_lo
	s_delay_alu instid0(VALU_DEP_1) | instskip(NEXT) | instid1(VALU_DEP_1)
	v_add3_u32 v1, v4, v1, 0x88fffff
	v_lshrrev_b32_e32 v1, 21, v1
	s_and_not1_saveexec_b32 s29, s29
	s_cbranch_execnz .LBB15_319
.LBB15_84:
	s_or_b32 exec_lo, exec_lo, s29
	v_mov_b32_e32 v5, 0
	s_and_saveexec_b32 s29, s28
.LBB15_85:
	v_lshrrev_b32_e32 v5, 24, v4
	s_delay_alu instid0(VALU_DEP_1)
	v_and_or_b32 v5, 0x80, v5, v1
.LBB15_86:
	s_or_b32 exec_lo, exec_lo, s29
.LBB15_87:
	s_delay_alu instid0(SALU_CYCLE_1)
	s_or_b32 exec_lo, exec_lo, s27
	s_mov_b32 s27, 0
	global_store_b8 v[2:3], v5, off
.LBB15_88:
	s_and_b32 vcc_lo, exec_lo, s27
	s_cbranch_vccz .LBB15_98
; %bb.89:
	s_wait_xcnt 0x0
	v_and_b32_e32 v5, 0x7fffffff, v4
	s_mov_b32 s27, exec_lo
                                        ; implicit-def: $vgpr1
	s_delay_alu instid0(VALU_DEP_1)
	v_cmpx_gt_u32_e32 0x43f00000, v5
	s_xor_b32 s27, exec_lo, s27
	s_cbranch_execz .LBB15_95
; %bb.90:
	s_mov_b32 s28, exec_lo
                                        ; implicit-def: $vgpr1
	v_cmpx_lt_u32_e32 0x3c7fffff, v5
	s_xor_b32 s28, exec_lo, s28
; %bb.91:
	v_bfe_u32 v1, v4, 20, 1
	s_delay_alu instid0(VALU_DEP_1) | instskip(NEXT) | instid1(VALU_DEP_1)
	v_add3_u32 v1, v4, v1, 0x407ffff
	v_and_b32_e32 v5, 0xff00000, v1
	v_lshrrev_b32_e32 v1, 20, v1
	s_delay_alu instid0(VALU_DEP_2) | instskip(NEXT) | instid1(VALU_DEP_2)
	v_cmp_ne_u32_e32 vcc_lo, 0x7f00000, v5
	v_cndmask_b32_e32 v1, 0x7e, v1, vcc_lo
; %bb.92:
	s_and_not1_saveexec_b32 s28, s28
; %bb.93:
	v_add_f32_e64 v1, 0x46800000, |v4|
; %bb.94:
	s_or_b32 exec_lo, exec_lo, s28
                                        ; implicit-def: $vgpr5
.LBB15_95:
	s_and_not1_saveexec_b32 s27, s27
; %bb.96:
	v_mov_b32_e32 v1, 0x7f
	v_cmp_lt_u32_e32 vcc_lo, 0x7f800000, v5
	s_delay_alu instid0(VALU_DEP_2)
	v_cndmask_b32_e32 v1, 0x7e, v1, vcc_lo
; %bb.97:
	s_or_b32 exec_lo, exec_lo, s27
	v_lshrrev_b32_e32 v5, 24, v4
	s_delay_alu instid0(VALU_DEP_1)
	v_and_or_b32 v1, 0x80, v5, v1
	global_store_b8 v[2:3], v1, off
.LBB15_98:
	s_mov_b32 s27, 0
.LBB15_99:
	s_delay_alu instid0(SALU_CYCLE_1)
	s_and_not1_b32 vcc_lo, exec_lo, s27
	s_cbranch_vccnz .LBB15_109
; %bb.100:
	s_wait_xcnt 0x0
	v_and_b32_e32 v5, 0x7fffffff, v4
	s_mov_b32 s27, exec_lo
                                        ; implicit-def: $vgpr1
	s_delay_alu instid0(VALU_DEP_1)
	v_cmpx_gt_u32_e32 0x47800000, v5
	s_xor_b32 s27, exec_lo, s27
	s_cbranch_execz .LBB15_106
; %bb.101:
	s_mov_b32 s28, exec_lo
                                        ; implicit-def: $vgpr1
	v_cmpx_lt_u32_e32 0x387fffff, v5
	s_xor_b32 s28, exec_lo, s28
; %bb.102:
	v_bfe_u32 v1, v4, 21, 1
	s_delay_alu instid0(VALU_DEP_1) | instskip(NEXT) | instid1(VALU_DEP_1)
	v_add3_u32 v1, v4, v1, 0x80fffff
	v_lshrrev_b32_e32 v1, 21, v1
; %bb.103:
	s_and_not1_saveexec_b32 s28, s28
; %bb.104:
	v_add_f32_e64 v1, 0x43000000, |v4|
; %bb.105:
	s_or_b32 exec_lo, exec_lo, s28
                                        ; implicit-def: $vgpr5
.LBB15_106:
	s_and_not1_saveexec_b32 s27, s27
; %bb.107:
	v_mov_b32_e32 v1, 0x7f
	v_cmp_lt_u32_e32 vcc_lo, 0x7f800000, v5
	s_delay_alu instid0(VALU_DEP_2)
	v_cndmask_b32_e32 v1, 0x7c, v1, vcc_lo
; %bb.108:
	s_or_b32 exec_lo, exec_lo, s27
	v_lshrrev_b32_e32 v5, 24, v4
	s_delay_alu instid0(VALU_DEP_1)
	v_and_or_b32 v1, 0x80, v5, v1
	global_store_b8 v[2:3], v1, off
.LBB15_109:
	s_mov_b32 s28, 0
	s_mov_b32 s27, -1
.LBB15_110:
	s_and_not1_b32 vcc_lo, exec_lo, s28
	s_cbranch_vccnz .LBB15_118
; %bb.111:
	s_cmp_gt_i32 s26, 14
	s_mov_b32 s28, -1
	s_cbranch_scc0 .LBB15_115
; %bb.112:
	s_cmp_eq_u32 s26, 15
	s_mov_b32 s0, -1
	s_cbranch_scc0 .LBB15_114
; %bb.113:
	s_wait_xcnt 0x0
	v_bfe_u32 v1, v4, 16, 1
	v_cmp_o_f32_e32 vcc_lo, v4, v4
	s_mov_b32 s27, -1
	s_mov_b32 s0, 0
	s_delay_alu instid0(VALU_DEP_2) | instskip(NEXT) | instid1(VALU_DEP_1)
	v_add3_u32 v1, v4, v1, 0x7fff
	v_lshrrev_b32_e32 v1, 16, v1
	s_delay_alu instid0(VALU_DEP_1)
	v_cndmask_b32_e32 v1, 0x7fc0, v1, vcc_lo
	global_store_b16 v[2:3], v1, off
.LBB15_114:
	s_mov_b32 s28, 0
.LBB15_115:
	s_delay_alu instid0(SALU_CYCLE_1)
	s_and_b32 vcc_lo, exec_lo, s28
	s_cbranch_vccz .LBB15_118
; %bb.116:
	s_cmp_eq_u32 s26, 11
	s_mov_b32 s0, -1
	s_cbranch_scc0 .LBB15_118
; %bb.117:
	v_cmp_neq_f32_e32 vcc_lo, 0, v4
	s_mov_b32 s0, 0
	s_mov_b32 s27, -1
	s_wait_xcnt 0x0
	v_cndmask_b32_e64 v1, 0, 1, vcc_lo
	global_store_b8 v[2:3], v1, off
.LBB15_118:
	s_branch .LBB15_37
.LBB15_119:
	s_and_b32 s25, 0xffff, s25
	s_mov_b32 s26, -1
	s_cmp_lt_i32 s25, 5
	s_cbranch_scc1 .LBB15_140
; %bb.120:
	s_cmp_lt_i32 s25, 8
	s_cbranch_scc1 .LBB15_130
; %bb.121:
	;; [unrolled: 3-line block ×3, first 2 shown]
	s_cmp_gt_i32 s25, 9
	s_cbranch_scc0 .LBB15_124
; %bb.123:
	s_wait_xcnt 0x0
	v_cvt_f64_f32_e32 v[6:7], v4
	v_mov_b32_e32 v8, 0
	s_mov_b32 s26, 0
	s_delay_alu instid0(VALU_DEP_1)
	v_mov_b32_e32 v9, v8
	global_store_b128 v[2:3], v[6:9], off
.LBB15_124:
	s_and_not1_b32 vcc_lo, exec_lo, s26
	s_cbranch_vccnz .LBB15_126
; %bb.125:
	s_wait_xcnt 0x0
	v_mov_b32_e32 v5, 0
	global_store_b64 v[2:3], v[4:5], off
.LBB15_126:
	s_mov_b32 s26, 0
.LBB15_127:
	s_delay_alu instid0(SALU_CYCLE_1)
	s_and_not1_b32 vcc_lo, exec_lo, s26
	s_cbranch_vccnz .LBB15_129
; %bb.128:
	s_wait_xcnt 0x0
	v_cvt_f16_f32_e32 v1, v4
	s_delay_alu instid0(VALU_DEP_1)
	v_and_b32_e32 v1, 0xffff, v1
	global_store_b32 v[2:3], v1, off
.LBB15_129:
	s_mov_b32 s26, 0
.LBB15_130:
	s_delay_alu instid0(SALU_CYCLE_1)
	s_and_not1_b32 vcc_lo, exec_lo, s26
	s_cbranch_vccnz .LBB15_139
; %bb.131:
	s_cmp_lt_i32 s25, 6
	s_mov_b32 s26, -1
	s_cbranch_scc1 .LBB15_137
; %bb.132:
	s_cmp_gt_i32 s25, 6
	s_cbranch_scc0 .LBB15_134
; %bb.133:
	s_wait_xcnt 0x0
	v_cvt_f64_f32_e32 v[6:7], v4
	s_mov_b32 s26, 0
	global_store_b64 v[2:3], v[6:7], off
.LBB15_134:
	s_and_not1_b32 vcc_lo, exec_lo, s26
	s_cbranch_vccnz .LBB15_136
; %bb.135:
	global_store_b32 v[2:3], v4, off
.LBB15_136:
	s_mov_b32 s26, 0
.LBB15_137:
	s_delay_alu instid0(SALU_CYCLE_1)
	s_and_not1_b32 vcc_lo, exec_lo, s26
	s_cbranch_vccnz .LBB15_139
; %bb.138:
	s_wait_xcnt 0x0
	v_cvt_f16_f32_e32 v1, v4
	global_store_b16 v[2:3], v1, off
.LBB15_139:
	s_mov_b32 s26, 0
.LBB15_140:
	s_delay_alu instid0(SALU_CYCLE_1)
	s_and_not1_b32 vcc_lo, exec_lo, s26
	s_cbranch_vccnz .LBB15_156
; %bb.141:
	s_cmp_lt_i32 s25, 2
	s_mov_b32 s26, -1
	s_cbranch_scc1 .LBB15_151
; %bb.142:
	s_cmp_lt_i32 s25, 3
	s_cbranch_scc1 .LBB15_148
; %bb.143:
	s_cmp_gt_i32 s25, 3
	s_cbranch_scc0 .LBB15_145
; %bb.144:
	s_wait_xcnt 0x0
	v_trunc_f32_e32 v1, v4
	s_mov_b32 s26, 0
	s_delay_alu instid0(VALU_DEP_1) | instskip(SKIP_1) | instid1(VALU_DEP_2)
	v_mul_f32_e64 v5, 0x2f800000, |v1|
	v_ashrrev_i32_e32 v6, 31, v1
	v_floor_f32_e32 v5, v5
	s_delay_alu instid0(VALU_DEP_1) | instskip(SKIP_1) | instid1(VALU_DEP_2)
	v_fma_f32 v7, 0xcf800000, v5, |v1|
	v_cvt_u32_f32_e32 v1, v5
	v_cvt_u32_f32_e32 v5, v7
	s_delay_alu instid0(VALU_DEP_2) | instskip(NEXT) | instid1(VALU_DEP_2)
	v_dual_mov_b32 v7, v6 :: v_dual_bitop2_b32 v9, v1, v6 bitop3:0x14
	v_xor_b32_e32 v8, v5, v6
	s_delay_alu instid0(VALU_DEP_1)
	v_sub_nc_u64_e32 v[6:7], v[8:9], v[6:7]
	global_store_b64 v[2:3], v[6:7], off
.LBB15_145:
	s_and_not1_b32 vcc_lo, exec_lo, s26
	s_cbranch_vccnz .LBB15_147
; %bb.146:
	s_wait_xcnt 0x0
	v_cvt_i32_f32_e32 v1, v4
	global_store_b32 v[2:3], v1, off
.LBB15_147:
	s_mov_b32 s26, 0
.LBB15_148:
	s_delay_alu instid0(SALU_CYCLE_1)
	s_and_not1_b32 vcc_lo, exec_lo, s26
	s_cbranch_vccnz .LBB15_150
; %bb.149:
	s_wait_xcnt 0x0
	v_cvt_i32_f32_e32 v1, v4
	global_store_b16 v[2:3], v1, off
.LBB15_150:
	s_mov_b32 s26, 0
.LBB15_151:
	s_delay_alu instid0(SALU_CYCLE_1)
	s_and_not1_b32 vcc_lo, exec_lo, s26
	s_cbranch_vccnz .LBB15_156
; %bb.152:
	s_cmp_gt_i32 s25, 0
	s_mov_b32 s25, -1
	s_cbranch_scc0 .LBB15_154
; %bb.153:
	s_wait_xcnt 0x0
	v_cvt_i32_f32_e32 v1, v4
	s_mov_b32 s25, 0
	global_store_b8 v[2:3], v1, off
.LBB15_154:
	s_and_not1_b32 vcc_lo, exec_lo, s25
	s_cbranch_vccnz .LBB15_156
; %bb.155:
	s_wait_xcnt 0x0
	v_trunc_f32_e32 v1, v4
	s_delay_alu instid0(VALU_DEP_1) | instskip(NEXT) | instid1(VALU_DEP_1)
	v_mul_f32_e64 v4, 0x2f800000, |v1|
	v_floor_f32_e32 v4, v4
	s_delay_alu instid0(VALU_DEP_1) | instskip(SKIP_1) | instid1(VALU_DEP_2)
	v_fma_f32 v4, 0xcf800000, v4, |v1|
	v_ashrrev_i32_e32 v1, 31, v1
	v_cvt_u32_f32_e32 v4, v4
	s_delay_alu instid0(VALU_DEP_1) | instskip(NEXT) | instid1(VALU_DEP_1)
	v_xor_b32_e32 v4, v4, v1
	v_sub_nc_u32_e32 v1, v4, v1
	global_store_b8 v[2:3], v1, off
.LBB15_156:
.LBB15_157:
	v_add_nc_u32_e32 v0, 0x80, v0
	s_mov_b32 s25, -1
	s_branch .LBB15_268
.LBB15_158:
	s_mov_b32 s24, -1
                                        ; implicit-def: $vgpr1
.LBB15_159:
	s_mov_b32 s26, 0
.LBB15_160:
	s_delay_alu instid0(SALU_CYCLE_1)
	s_and_b32 vcc_lo, exec_lo, s26
	s_cbranch_vccz .LBB15_164
; %bb.161:
	s_cmp_eq_u32 s0, 29
	s_cbranch_scc0 .LBB15_163
; %bb.162:
	global_load_b64 v[6:7], v[4:5], off
	s_mov_b32 s25, -1
	s_mov_b32 s24, 0
	s_mov_b32 s26, 0
	s_wait_loadcnt 0x0
	v_clz_i32_u32_e32 v1, v7
	s_delay_alu instid0(VALU_DEP_1) | instskip(NEXT) | instid1(VALU_DEP_1)
	v_min_u32_e32 v1, 32, v1
	v_lshlrev_b64_e32 v[6:7], v1, v[6:7]
	v_sub_nc_u32_e32 v1, 32, v1
	s_delay_alu instid0(VALU_DEP_2) | instskip(NEXT) | instid1(VALU_DEP_1)
	v_min_u32_e32 v3, 1, v6
	v_or_b32_e32 v3, v7, v3
	s_delay_alu instid0(VALU_DEP_1) | instskip(NEXT) | instid1(VALU_DEP_1)
	v_cvt_f32_u32_e32 v3, v3
	v_ldexp_f32 v1, v3, v1
	s_branch .LBB15_165
.LBB15_163:
	s_mov_b32 s24, -1
                                        ; implicit-def: $vgpr1
.LBB15_164:
	s_mov_b32 s26, 0
.LBB15_165:
	s_delay_alu instid0(SALU_CYCLE_1)
	s_and_b32 vcc_lo, exec_lo, s26
	s_cbranch_vccz .LBB15_183
; %bb.166:
	s_cmp_lt_i32 s0, 27
	s_cbranch_scc1 .LBB15_169
; %bb.167:
	s_cmp_gt_i32 s0, 27
	s_cbranch_scc0 .LBB15_170
; %bb.168:
	global_load_b32 v1, v[4:5], off
	s_mov_b32 s25, 0
	s_wait_loadcnt 0x0
	v_cvt_f32_u32_e32 v1, v1
	s_branch .LBB15_171
.LBB15_169:
	s_mov_b32 s25, -1
                                        ; implicit-def: $vgpr1
	s_branch .LBB15_174
.LBB15_170:
	s_mov_b32 s25, -1
                                        ; implicit-def: $vgpr1
.LBB15_171:
	s_delay_alu instid0(SALU_CYCLE_1)
	s_and_not1_b32 vcc_lo, exec_lo, s25
	s_cbranch_vccnz .LBB15_173
; %bb.172:
	global_load_u16 v1, v[4:5], off
	s_wait_loadcnt 0x0
	v_cvt_f32_u32_e32 v1, v1
.LBB15_173:
	s_mov_b32 s25, 0
.LBB15_174:
	s_delay_alu instid0(SALU_CYCLE_1)
	s_and_not1_b32 vcc_lo, exec_lo, s25
	s_cbranch_vccnz .LBB15_182
; %bb.175:
	global_load_u8 v3, v[4:5], off
	s_mov_b32 s25, 0
	s_mov_b32 s26, exec_lo
	s_wait_loadcnt 0x0
	v_cmpx_lt_i16_e32 0x7f, v3
	s_xor_b32 s26, exec_lo, s26
	s_cbranch_execz .LBB15_195
; %bb.176:
	s_mov_b32 s25, -1
	s_mov_b32 s27, exec_lo
	v_cmpx_eq_u16_e32 0x80, v3
; %bb.177:
	s_xor_b32 s25, exec_lo, -1
; %bb.178:
	s_or_b32 exec_lo, exec_lo, s27
	s_delay_alu instid0(SALU_CYCLE_1)
	s_and_b32 s25, s25, exec_lo
	s_or_saveexec_b32 s26, s26
	v_mov_b32_e32 v1, 0x7f800001
	s_xor_b32 exec_lo, exec_lo, s26
	s_cbranch_execnz .LBB15_196
.LBB15_179:
	s_or_b32 exec_lo, exec_lo, s26
	s_and_saveexec_b32 s26, s25
	s_cbranch_execz .LBB15_181
.LBB15_180:
	v_and_b32_e32 v1, 0xffff, v3
	s_delay_alu instid0(VALU_DEP_1) | instskip(SKIP_1) | instid1(VALU_DEP_2)
	v_and_b32_e32 v6, 7, v1
	v_bfe_u32 v9, v1, 3, 4
	v_clz_i32_u32_e32 v7, v6
	s_delay_alu instid0(VALU_DEP_2) | instskip(NEXT) | instid1(VALU_DEP_2)
	v_cmp_eq_u32_e32 vcc_lo, 0, v9
	v_min_u32_e32 v7, 32, v7
	s_delay_alu instid0(VALU_DEP_1) | instskip(NEXT) | instid1(VALU_DEP_1)
	v_subrev_nc_u32_e32 v8, 28, v7
	v_dual_lshlrev_b32 v1, v8, v1 :: v_dual_sub_nc_u32 v7, 29, v7
	s_delay_alu instid0(VALU_DEP_1) | instskip(NEXT) | instid1(VALU_DEP_1)
	v_dual_lshlrev_b32 v3, 24, v3 :: v_dual_bitop2_b32 v1, 7, v1 bitop3:0x40
	v_dual_cndmask_b32 v1, v6, v1, vcc_lo :: v_dual_cndmask_b32 v7, v9, v7, vcc_lo
	s_delay_alu instid0(VALU_DEP_2) | instskip(NEXT) | instid1(VALU_DEP_2)
	v_and_b32_e32 v3, 0x80000000, v3
	v_lshlrev_b32_e32 v1, 20, v1
	s_delay_alu instid0(VALU_DEP_3) | instskip(NEXT) | instid1(VALU_DEP_1)
	v_lshl_add_u32 v6, v7, 23, 0x3b800000
	v_or3_b32 v1, v3, v6, v1
.LBB15_181:
	s_or_b32 exec_lo, exec_lo, s26
.LBB15_182:
	s_mov_b32 s25, -1
.LBB15_183:
	s_branch .LBB15_218
.LBB15_184:
	s_cmp_gt_i32 s0, 22
	s_cbranch_scc0 .LBB15_194
; %bb.185:
	s_cmp_lt_i32 s0, 24
	s_cbranch_scc1 .LBB15_197
; %bb.186:
	s_cmp_gt_i32 s0, 24
	s_cbranch_scc0 .LBB15_198
; %bb.187:
	global_load_u8 v3, v[4:5], off
	s_mov_b32 s25, 0
	s_mov_b32 s26, exec_lo
	s_wait_loadcnt 0x0
	v_cmpx_lt_i16_e32 0x7f, v3
	s_xor_b32 s26, exec_lo, s26
	s_cbranch_execz .LBB15_210
; %bb.188:
	s_mov_b32 s25, -1
	s_mov_b32 s27, exec_lo
	v_cmpx_eq_u16_e32 0x80, v3
; %bb.189:
	s_xor_b32 s25, exec_lo, -1
; %bb.190:
	s_or_b32 exec_lo, exec_lo, s27
	s_delay_alu instid0(SALU_CYCLE_1)
	s_and_b32 s25, s25, exec_lo
	s_or_saveexec_b32 s26, s26
	v_mov_b32_e32 v1, 0x7f800001
	s_xor_b32 exec_lo, exec_lo, s26
	s_cbranch_execnz .LBB15_211
.LBB15_191:
	s_or_b32 exec_lo, exec_lo, s26
	s_and_saveexec_b32 s26, s25
	s_cbranch_execz .LBB15_193
.LBB15_192:
	v_and_b32_e32 v1, 0xffff, v3
	s_delay_alu instid0(VALU_DEP_1) | instskip(SKIP_1) | instid1(VALU_DEP_2)
	v_and_b32_e32 v6, 3, v1
	v_bfe_u32 v9, v1, 2, 5
	v_clz_i32_u32_e32 v7, v6
	s_delay_alu instid0(VALU_DEP_2) | instskip(NEXT) | instid1(VALU_DEP_2)
	v_cmp_eq_u32_e32 vcc_lo, 0, v9
	v_min_u32_e32 v7, 32, v7
	s_delay_alu instid0(VALU_DEP_1) | instskip(NEXT) | instid1(VALU_DEP_1)
	v_subrev_nc_u32_e32 v8, 29, v7
	v_dual_lshlrev_b32 v1, v8, v1 :: v_dual_sub_nc_u32 v7, 30, v7
	s_delay_alu instid0(VALU_DEP_1) | instskip(NEXT) | instid1(VALU_DEP_1)
	v_dual_lshlrev_b32 v3, 24, v3 :: v_dual_bitop2_b32 v1, 3, v1 bitop3:0x40
	v_dual_cndmask_b32 v1, v6, v1, vcc_lo :: v_dual_cndmask_b32 v7, v9, v7, vcc_lo
	s_delay_alu instid0(VALU_DEP_2) | instskip(NEXT) | instid1(VALU_DEP_2)
	v_and_b32_e32 v3, 0x80000000, v3
	v_lshlrev_b32_e32 v1, 21, v1
	s_delay_alu instid0(VALU_DEP_3) | instskip(NEXT) | instid1(VALU_DEP_1)
	v_lshl_add_u32 v6, v7, 23, 0x37800000
	v_or3_b32 v1, v3, v6, v1
.LBB15_193:
	s_or_b32 exec_lo, exec_lo, s26
	s_mov_b32 s25, 0
	s_branch .LBB15_199
.LBB15_194:
	s_mov_b32 s26, -1
                                        ; implicit-def: $vgpr1
	s_branch .LBB15_205
.LBB15_195:
	s_or_saveexec_b32 s26, s26
	v_mov_b32_e32 v1, 0x7f800001
	s_xor_b32 exec_lo, exec_lo, s26
	s_cbranch_execz .LBB15_179
.LBB15_196:
	v_cmp_ne_u16_e32 vcc_lo, 0, v3
	v_mov_b32_e32 v1, 0
	s_and_not1_b32 s25, s25, exec_lo
	s_and_b32 s27, vcc_lo, exec_lo
	s_delay_alu instid0(SALU_CYCLE_1)
	s_or_b32 s25, s25, s27
	s_or_b32 exec_lo, exec_lo, s26
	s_and_saveexec_b32 s26, s25
	s_cbranch_execnz .LBB15_180
	s_branch .LBB15_181
.LBB15_197:
	s_mov_b32 s25, -1
                                        ; implicit-def: $vgpr1
	s_branch .LBB15_202
.LBB15_198:
	s_mov_b32 s25, -1
                                        ; implicit-def: $vgpr1
.LBB15_199:
	s_delay_alu instid0(SALU_CYCLE_1)
	s_and_b32 vcc_lo, exec_lo, s25
	s_cbranch_vccz .LBB15_201
; %bb.200:
	global_load_u8 v1, v[4:5], off
	s_wait_loadcnt 0x0
	v_lshlrev_b32_e32 v1, 24, v1
	s_delay_alu instid0(VALU_DEP_1) | instskip(NEXT) | instid1(VALU_DEP_1)
	v_and_b32_e32 v3, 0x7f000000, v1
	v_clz_i32_u32_e32 v6, v3
	v_cmp_ne_u32_e32 vcc_lo, 0, v3
	v_add_nc_u32_e32 v8, 0x1000000, v3
	s_delay_alu instid0(VALU_DEP_3) | instskip(NEXT) | instid1(VALU_DEP_1)
	v_min_u32_e32 v6, 32, v6
	v_sub_nc_u32_e64 v6, v6, 4 clamp
	s_delay_alu instid0(VALU_DEP_1) | instskip(NEXT) | instid1(VALU_DEP_1)
	v_dual_lshlrev_b32 v7, v6, v3 :: v_dual_lshlrev_b32 v6, 23, v6
	v_lshrrev_b32_e32 v7, 4, v7
	s_delay_alu instid0(VALU_DEP_1) | instskip(NEXT) | instid1(VALU_DEP_1)
	v_dual_sub_nc_u32 v6, v7, v6 :: v_dual_ashrrev_i32 v7, 8, v8
	v_add_nc_u32_e32 v6, 0x3c000000, v6
	s_delay_alu instid0(VALU_DEP_1) | instskip(NEXT) | instid1(VALU_DEP_1)
	v_and_or_b32 v6, 0x7f800000, v7, v6
	v_cndmask_b32_e32 v3, 0, v6, vcc_lo
	s_delay_alu instid0(VALU_DEP_1)
	v_and_or_b32 v1, 0x80000000, v1, v3
.LBB15_201:
	s_mov_b32 s25, 0
.LBB15_202:
	s_delay_alu instid0(SALU_CYCLE_1)
	s_and_not1_b32 vcc_lo, exec_lo, s25
	s_cbranch_vccnz .LBB15_204
; %bb.203:
	global_load_u8 v1, v[4:5], off
	s_wait_loadcnt 0x0
	v_lshlrev_b32_e32 v3, 25, v1
	v_lshlrev_b16 v1, 8, v1
	s_delay_alu instid0(VALU_DEP_1) | instskip(SKIP_1) | instid1(VALU_DEP_2)
	v_and_or_b32 v7, 0x7f00, v1, 0.5
	v_bfe_i32 v1, v1, 0, 16
	v_add_f32_e32 v7, -0.5, v7
	v_lshrrev_b32_e32 v6, 4, v3
	v_cmp_gt_u32_e32 vcc_lo, 0x8000000, v3
	s_delay_alu instid0(VALU_DEP_2) | instskip(NEXT) | instid1(VALU_DEP_1)
	v_or_b32_e32 v6, 0x70000000, v6
	v_mul_f32_e32 v6, 0x7800000, v6
	s_delay_alu instid0(VALU_DEP_1) | instskip(NEXT) | instid1(VALU_DEP_1)
	v_cndmask_b32_e32 v3, v6, v7, vcc_lo
	v_and_or_b32 v1, 0x80000000, v1, v3
.LBB15_204:
	s_mov_b32 s26, 0
	s_mov_b32 s25, -1
.LBB15_205:
	s_and_not1_b32 vcc_lo, exec_lo, s26
	s_cbranch_vccnz .LBB15_218
; %bb.206:
	s_cmp_gt_i32 s0, 14
	s_cbranch_scc0 .LBB15_209
; %bb.207:
	s_cmp_eq_u32 s0, 15
	s_cbranch_scc0 .LBB15_212
; %bb.208:
	global_load_u16 v1, v[4:5], off
	s_mov_b32 s25, -1
	s_mov_b32 s24, 0
	s_wait_loadcnt 0x0
	v_lshlrev_b32_e32 v1, 16, v1
	s_branch .LBB15_213
.LBB15_209:
	s_mov_b32 s26, -1
                                        ; implicit-def: $vgpr1
	s_branch .LBB15_214
.LBB15_210:
	s_or_saveexec_b32 s26, s26
	v_mov_b32_e32 v1, 0x7f800001
	s_xor_b32 exec_lo, exec_lo, s26
	s_cbranch_execz .LBB15_191
.LBB15_211:
	v_cmp_ne_u16_e32 vcc_lo, 0, v3
	v_mov_b32_e32 v1, 0
	s_and_not1_b32 s25, s25, exec_lo
	s_and_b32 s27, vcc_lo, exec_lo
	s_delay_alu instid0(SALU_CYCLE_1)
	s_or_b32 s25, s25, s27
	s_or_b32 exec_lo, exec_lo, s26
	s_and_saveexec_b32 s26, s25
	s_cbranch_execnz .LBB15_192
	s_branch .LBB15_193
.LBB15_212:
	s_mov_b32 s24, -1
                                        ; implicit-def: $vgpr1
.LBB15_213:
	s_mov_b32 s26, 0
.LBB15_214:
	s_delay_alu instid0(SALU_CYCLE_1)
	s_and_b32 vcc_lo, exec_lo, s26
	s_cbranch_vccz .LBB15_218
; %bb.215:
	s_cmp_eq_u32 s0, 11
	s_cbranch_scc0 .LBB15_217
; %bb.216:
	global_load_u8 v1, v[4:5], off
	s_mov_b32 s24, 0
	s_mov_b32 s25, -1
	s_wait_loadcnt 0x0
	v_cmp_ne_u16_e32 vcc_lo, 0, v1
	v_cndmask_b32_e64 v1, 0, 1.0, vcc_lo
	s_branch .LBB15_218
.LBB15_217:
	s_mov_b32 s24, -1
                                        ; implicit-def: $vgpr1
.LBB15_218:
	s_branch .LBB15_25
.LBB15_219:
	s_cmp_lt_i32 s0, 5
	s_cbranch_scc1 .LBB15_224
; %bb.220:
	s_cmp_lt_i32 s0, 8
	s_cbranch_scc1 .LBB15_225
; %bb.221:
	s_cmp_lt_i32 s0, 9
	s_cbranch_scc1 .LBB15_226
; %bb.222:
	s_cmp_gt_i32 s0, 9
	s_cbranch_scc0 .LBB15_227
; %bb.223:
	global_load_b64 v[6:7], v[4:5], off
	s_mov_b32 s25, 0
	s_wait_loadcnt 0x0
	v_cvt_f32_f64_e32 v1, v[6:7]
	s_branch .LBB15_228
.LBB15_224:
                                        ; implicit-def: $vgpr1
	s_branch .LBB15_246
.LBB15_225:
	s_mov_b32 s25, -1
                                        ; implicit-def: $vgpr1
	s_branch .LBB15_234
.LBB15_226:
	s_mov_b32 s25, -1
                                        ; implicit-def: $vgpr1
	s_branch .LBB15_231
.LBB15_227:
	s_mov_b32 s25, -1
                                        ; implicit-def: $vgpr1
.LBB15_228:
	s_delay_alu instid0(SALU_CYCLE_1)
	s_and_not1_b32 vcc_lo, exec_lo, s25
	s_cbranch_vccnz .LBB15_230
; %bb.229:
	global_load_b32 v1, v[4:5], off
.LBB15_230:
	s_mov_b32 s25, 0
.LBB15_231:
	s_delay_alu instid0(SALU_CYCLE_1)
	s_and_not1_b32 vcc_lo, exec_lo, s25
	s_cbranch_vccnz .LBB15_233
; %bb.232:
	s_wait_loadcnt 0x0
	global_load_b32 v1, v[4:5], off
	s_wait_loadcnt 0x0
	v_cvt_f32_f16_e32 v1, v1
.LBB15_233:
	s_mov_b32 s25, 0
.LBB15_234:
	s_delay_alu instid0(SALU_CYCLE_1)
	s_and_not1_b32 vcc_lo, exec_lo, s25
	s_cbranch_vccnz .LBB15_245
; %bb.235:
	s_cmp_lt_i32 s0, 6
	s_cbranch_scc1 .LBB15_238
; %bb.236:
	s_cmp_gt_i32 s0, 6
	s_cbranch_scc0 .LBB15_239
; %bb.237:
	global_load_b64 v[6:7], v[4:5], off
	s_mov_b32 s25, 0
	s_wait_loadcnt 0x0
	v_cvt_f32_f64_e32 v1, v[6:7]
	s_branch .LBB15_240
.LBB15_238:
	s_mov_b32 s25, -1
                                        ; implicit-def: $vgpr1
	s_branch .LBB15_243
.LBB15_239:
	s_mov_b32 s25, -1
                                        ; implicit-def: $vgpr1
.LBB15_240:
	s_delay_alu instid0(SALU_CYCLE_1)
	s_and_not1_b32 vcc_lo, exec_lo, s25
	s_cbranch_vccnz .LBB15_242
; %bb.241:
	s_wait_loadcnt 0x0
	global_load_b32 v1, v[4:5], off
.LBB15_242:
	s_mov_b32 s25, 0
.LBB15_243:
	s_delay_alu instid0(SALU_CYCLE_1)
	s_and_not1_b32 vcc_lo, exec_lo, s25
	s_cbranch_vccnz .LBB15_245
; %bb.244:
	s_wait_loadcnt 0x0
	global_load_u16 v1, v[4:5], off
	s_wait_loadcnt 0x0
	v_cvt_f32_f16_e32 v1, v1
.LBB15_245:
	s_cbranch_execnz .LBB15_265
.LBB15_246:
	s_cmp_lt_i32 s0, 2
	s_cbranch_scc1 .LBB15_250
; %bb.247:
	s_cmp_lt_i32 s0, 3
	s_cbranch_scc1 .LBB15_251
; %bb.248:
	s_cmp_gt_i32 s0, 3
	s_cbranch_scc0 .LBB15_252
; %bb.249:
	global_load_b64 v[6:7], v[4:5], off
	s_mov_b32 s25, 0
	s_wait_loadcnt 0x0
	v_xor_b32_e32 v1, v6, v7
	v_cls_i32_e32 v3, v7
	s_delay_alu instid0(VALU_DEP_2) | instskip(NEXT) | instid1(VALU_DEP_1)
	v_ashrrev_i32_e32 v1, 31, v1
	v_add_nc_u32_e32 v1, 32, v1
	s_delay_alu instid0(VALU_DEP_1) | instskip(NEXT) | instid1(VALU_DEP_1)
	v_add_min_u32_e64 v1, v3, -1, v1
	v_lshlrev_b64_e32 v[6:7], v1, v[6:7]
	v_sub_nc_u32_e32 v1, 32, v1
	s_delay_alu instid0(VALU_DEP_2) | instskip(NEXT) | instid1(VALU_DEP_1)
	v_min_u32_e32 v3, 1, v6
	v_or_b32_e32 v3, v7, v3
	s_delay_alu instid0(VALU_DEP_1) | instskip(NEXT) | instid1(VALU_DEP_1)
	v_cvt_f32_i32_e32 v3, v3
	v_ldexp_f32 v1, v3, v1
	s_branch .LBB15_253
.LBB15_250:
	s_mov_b32 s25, -1
                                        ; implicit-def: $vgpr1
	s_branch .LBB15_259
.LBB15_251:
	s_mov_b32 s25, -1
                                        ; implicit-def: $vgpr1
	s_branch .LBB15_256
.LBB15_252:
	s_mov_b32 s25, -1
                                        ; implicit-def: $vgpr1
.LBB15_253:
	s_delay_alu instid0(SALU_CYCLE_1)
	s_and_not1_b32 vcc_lo, exec_lo, s25
	s_cbranch_vccnz .LBB15_255
; %bb.254:
	s_wait_loadcnt 0x0
	global_load_b32 v1, v[4:5], off
	s_wait_loadcnt 0x0
	v_cvt_f32_i32_e32 v1, v1
.LBB15_255:
	s_mov_b32 s25, 0
.LBB15_256:
	s_delay_alu instid0(SALU_CYCLE_1)
	s_and_not1_b32 vcc_lo, exec_lo, s25
	s_cbranch_vccnz .LBB15_258
; %bb.257:
	s_wait_loadcnt 0x0
	global_load_i16 v1, v[4:5], off
	s_wait_loadcnt 0x0
	v_cvt_f32_i32_e32 v1, v1
.LBB15_258:
	s_mov_b32 s25, 0
.LBB15_259:
	s_delay_alu instid0(SALU_CYCLE_1)
	s_and_not1_b32 vcc_lo, exec_lo, s25
	s_cbranch_vccnz .LBB15_265
; %bb.260:
	s_cmp_gt_i32 s0, 0
	s_mov_b32 s0, 0
	s_cbranch_scc0 .LBB15_262
; %bb.261:
	s_wait_loadcnt 0x0
	global_load_i8 v1, v[4:5], off
	s_wait_loadcnt 0x0
	v_cvt_f32_i32_e32 v1, v1
	s_branch .LBB15_263
.LBB15_262:
	s_mov_b32 s0, -1
                                        ; implicit-def: $vgpr1
.LBB15_263:
	s_delay_alu instid0(SALU_CYCLE_1)
	s_and_not1_b32 vcc_lo, exec_lo, s0
	s_cbranch_vccnz .LBB15_265
; %bb.264:
	s_wait_loadcnt 0x0
	global_load_u8 v1, v[4:5], off
	s_wait_loadcnt 0x0
	v_cvt_f32_ubyte0_e32 v1, v1
.LBB15_265:
	s_branch .LBB15_26
.LBB15_266:
	s_mov_b32 s0, 0
.LBB15_267:
	s_mov_b32 s25, 0
                                        ; implicit-def: $vgpr0
.LBB15_268:
	s_and_b32 s40, s0, exec_lo
	s_and_b32 s41, s24, exec_lo
	s_or_not1_b32 s25, s25, exec_lo
.LBB15_269:
	s_wait_xcnt 0x0
	s_or_b32 exec_lo, exec_lo, s42
	s_mov_b32 s24, 0
	s_mov_b32 s0, 0
                                        ; implicit-def: $vgpr4_vgpr5
                                        ; implicit-def: $vgpr2
                                        ; implicit-def: $vgpr1
	s_and_saveexec_b32 s42, s25
	s_cbranch_execz .LBB15_277
; %bb.270:
	s_mov_b32 s0, -1
	s_mov_b32 s43, s41
	s_mov_b32 s44, s40
	s_mov_b32 s45, exec_lo
	v_cmpx_gt_i32_e64 s37, v0
	s_cbranch_execz .LBB15_550
; %bb.271:
	s_and_not1_b32 vcc_lo, exec_lo, s34
	s_cbranch_vccnz .LBB15_280
; %bb.272:
	s_and_not1_b32 vcc_lo, exec_lo, s39
	s_cbranch_vccnz .LBB15_281
; %bb.273:
	s_add_co_i32 s0, s38, 1
	s_cmp_eq_u32 s31, 2
	s_cbranch_scc1 .LBB15_282
; %bb.274:
	v_dual_mov_b32 v2, 0 :: v_dual_mov_b32 v4, 0
	s_wait_loadcnt 0x0
	v_mov_b32_e32 v1, v0
	s_and_b32 s24, s0, 28
	s_mov_b32 s25, 0
	s_mov_b64 s[26:27], s[2:3]
	s_mov_b64 s[28:29], s[22:23]
.LBB15_275:                             ; =>This Inner Loop Header: Depth=1
	s_clause 0x1
	s_load_b256 s[48:55], s[26:27], 0x4
	s_load_b128 s[64:67], s[26:27], 0x24
	s_load_b256 s[56:63], s[28:29], 0x0
	s_add_co_i32 s25, s25, 4
	s_wait_xcnt 0x0
	s_add_nc_u64 s[26:27], s[26:27], 48
	s_cmp_eq_u32 s24, s25
	s_add_nc_u64 s[28:29], s[28:29], 32
	s_wait_kmcnt 0x0
	v_mul_hi_u32 v3, s49, v1
	s_delay_alu instid0(VALU_DEP_1) | instskip(NEXT) | instid1(VALU_DEP_1)
	v_add_nc_u32_e32 v3, v1, v3
	v_lshrrev_b32_e32 v3, s50, v3
	s_delay_alu instid0(VALU_DEP_1) | instskip(NEXT) | instid1(VALU_DEP_1)
	v_mul_hi_u32 v5, s52, v3
	v_add_nc_u32_e32 v5, v3, v5
	s_delay_alu instid0(VALU_DEP_1) | instskip(NEXT) | instid1(VALU_DEP_1)
	v_lshrrev_b32_e32 v5, s53, v5
	v_mul_hi_u32 v6, s55, v5
	s_delay_alu instid0(VALU_DEP_1) | instskip(SKIP_1) | instid1(VALU_DEP_1)
	v_add_nc_u32_e32 v6, v5, v6
	v_mul_lo_u32 v7, v3, s48
	v_sub_nc_u32_e32 v1, v1, v7
	v_mul_lo_u32 v7, v5, s51
	s_delay_alu instid0(VALU_DEP_4) | instskip(NEXT) | instid1(VALU_DEP_3)
	v_lshrrev_b32_e32 v6, s64, v6
	v_mad_u32 v4, v1, s57, v4
	v_mad_u32 v1, v1, s56, v2
	s_delay_alu instid0(VALU_DEP_4) | instskip(NEXT) | instid1(VALU_DEP_4)
	v_sub_nc_u32_e32 v2, v3, v7
	v_mul_hi_u32 v8, s66, v6
	v_mul_lo_u32 v3, v6, s54
	s_delay_alu instid0(VALU_DEP_3) | instskip(SKIP_1) | instid1(VALU_DEP_3)
	v_mad_u32 v4, v2, s59, v4
	v_mad_u32 v2, v2, s58, v1
	v_dual_add_nc_u32 v7, v6, v8 :: v_dual_sub_nc_u32 v3, v5, v3
	s_delay_alu instid0(VALU_DEP_1) | instskip(NEXT) | instid1(VALU_DEP_2)
	v_lshrrev_b32_e32 v1, s67, v7
	v_mad_u32 v4, v3, s61, v4
	s_delay_alu instid0(VALU_DEP_4) | instskip(NEXT) | instid1(VALU_DEP_3)
	v_mad_u32 v2, v3, s60, v2
	v_mul_lo_u32 v5, v1, s65
	s_delay_alu instid0(VALU_DEP_1) | instskip(NEXT) | instid1(VALU_DEP_1)
	v_sub_nc_u32_e32 v3, v6, v5
	v_mad_u32 v4, v3, s63, v4
	s_delay_alu instid0(VALU_DEP_4)
	v_mad_u32 v2, v3, s62, v2
	s_cbranch_scc0 .LBB15_275
; %bb.276:
	s_delay_alu instid0(VALU_DEP_2)
	v_mov_b32_e32 v3, v4
	s_branch .LBB15_283
.LBB15_277:
	s_or_b32 exec_lo, exec_lo, s42
	s_mov_b32 s1, 0
	s_and_saveexec_b32 s6, s41
	s_cbranch_execnz .LBB15_934
.LBB15_278:
	s_or_b32 exec_lo, exec_lo, s6
	s_and_saveexec_b32 s6, s19
	s_delay_alu instid0(SALU_CYCLE_1)
	s_xor_b32 s6, exec_lo, s6
	s_cbranch_execz .LBB15_935
.LBB15_279:
	global_load_u8 v0, v[4:5], off
	s_or_b32 s0, s0, exec_lo
	s_wait_loadcnt 0x0
	v_cmp_ne_u16_e32 vcc_lo, 0, v0
	v_cndmask_b32_e64 v1, 0, 1.0, vcc_lo
	s_wait_xcnt 0x0
	s_or_b32 exec_lo, exec_lo, s6
	s_and_saveexec_b32 s6, s24
	s_cbranch_execz .LBB15_981
	s_branch .LBB15_936
.LBB15_280:
                                        ; implicit-def: $vgpr4
                                        ; implicit-def: $vgpr2
	s_and_not1_b32 vcc_lo, exec_lo, s0
	s_cbranch_vccnz .LBB15_290
	s_branch .LBB15_288
.LBB15_281:
	v_dual_mov_b32 v4, 0 :: v_dual_mov_b32 v2, 0
	s_branch .LBB15_287
.LBB15_282:
	v_mov_b64_e32 v[2:3], 0
	s_wait_loadcnt 0x0
	v_mov_b32_e32 v1, v0
                                        ; implicit-def: $vgpr4
.LBB15_283:
	s_and_b32 s0, s0, 3
	s_mov_b32 s25, 0
	s_cmp_eq_u32 s0, 0
	s_cbranch_scc1 .LBB15_287
; %bb.284:
	s_lshl_b32 s26, s24, 3
	s_mov_b32 s27, s25
	s_mul_u64 s[28:29], s[24:25], 12
	s_add_nc_u64 s[26:27], s[2:3], s[26:27]
	s_delay_alu instid0(SALU_CYCLE_1)
	s_add_nc_u64 s[24:25], s[26:27], 0xc4
	s_add_nc_u64 s[26:27], s[2:3], s[28:29]
.LBB15_285:                             ; =>This Inner Loop Header: Depth=1
	s_load_b96 s[48:50], s[26:27], 0x4
	s_load_b64 s[28:29], s[24:25], 0x0
	s_add_co_i32 s0, s0, -1
	s_wait_xcnt 0x0
	s_add_nc_u64 s[26:27], s[26:27], 12
	s_cmp_lg_u32 s0, 0
	s_add_nc_u64 s[24:25], s[24:25], 8
	s_wait_kmcnt 0x0
	v_mul_hi_u32 v4, s49, v1
	s_delay_alu instid0(VALU_DEP_1) | instskip(NEXT) | instid1(VALU_DEP_1)
	v_add_nc_u32_e32 v4, v1, v4
	v_lshrrev_b32_e32 v4, s50, v4
	s_delay_alu instid0(VALU_DEP_1) | instskip(NEXT) | instid1(VALU_DEP_1)
	v_mul_lo_u32 v5, v4, s48
	v_sub_nc_u32_e32 v1, v1, v5
	s_delay_alu instid0(VALU_DEP_1)
	v_mad_u32 v3, v1, s29, v3
	v_mad_u32 v2, v1, s28, v2
	v_mov_b32_e32 v1, v4
	s_cbranch_scc1 .LBB15_285
; %bb.286:
	s_delay_alu instid0(VALU_DEP_3)
	v_mov_b32_e32 v4, v3
.LBB15_287:
	s_cbranch_execnz .LBB15_290
.LBB15_288:
	s_wait_loadcnt 0x0
	v_mov_b32_e32 v1, 0
	s_and_not1_b32 vcc_lo, exec_lo, s36
	s_delay_alu instid0(VALU_DEP_1) | instskip(NEXT) | instid1(VALU_DEP_1)
	v_mul_u64_e32 v[2:3], s[18:19], v[0:1]
	v_add_nc_u32_e32 v2, v0, v3
	s_delay_alu instid0(VALU_DEP_1) | instskip(NEXT) | instid1(VALU_DEP_1)
	v_lshrrev_b32_e32 v6, s10, v2
	v_mul_lo_u32 v2, v6, s8
	s_delay_alu instid0(VALU_DEP_1) | instskip(NEXT) | instid1(VALU_DEP_1)
	v_sub_nc_u32_e32 v2, v0, v2
	v_mul_lo_u32 v4, v2, s13
	v_mul_lo_u32 v2, v2, s12
	s_cbranch_vccnz .LBB15_290
; %bb.289:
	v_mov_b32_e32 v7, v1
	s_delay_alu instid0(VALU_DEP_1) | instskip(NEXT) | instid1(VALU_DEP_1)
	v_mul_u64_e32 v[8:9], s[20:21], v[6:7]
	v_add_nc_u32_e32 v1, v6, v9
	s_delay_alu instid0(VALU_DEP_1) | instskip(NEXT) | instid1(VALU_DEP_1)
	v_lshrrev_b32_e32 v1, s1, v1
	v_mul_lo_u32 v1, v1, s11
	s_delay_alu instid0(VALU_DEP_1) | instskip(NEXT) | instid1(VALU_DEP_1)
	v_sub_nc_u32_e32 v1, v6, v1
	v_mad_u32 v2, v1, s14, v2
	v_mad_u32 v4, v1, s15, v4
.LBB15_290:
	v_mov_b32_e32 v5, 0
	s_and_b32 s0, 0xffff, s9
	s_delay_alu instid0(SALU_CYCLE_1) | instskip(NEXT) | instid1(VALU_DEP_1)
	s_cmp_lt_i32 s0, 11
	v_add_nc_u64_e32 v[4:5], s[6:7], v[4:5]
	s_cbranch_scc1 .LBB15_297
; %bb.291:
	s_cmp_gt_i32 s0, 25
	s_cbranch_scc0 .LBB15_308
; %bb.292:
	s_cmp_gt_i32 s0, 28
	s_cbranch_scc0 .LBB15_310
	;; [unrolled: 3-line block ×4, first 2 shown]
; %bb.295:
	s_cmp_eq_u32 s0, 46
	s_mov_b32 s26, 0
	s_cbranch_scc0 .LBB15_320
; %bb.296:
	s_wait_loadcnt 0x0
	global_load_b32 v1, v[4:5], off
	s_mov_b32 s25, -1
	s_mov_b32 s24, 0
	s_wait_loadcnt 0x0
	v_lshlrev_b32_e32 v1, 16, v1
	s_branch .LBB15_322
.LBB15_297:
	s_mov_b32 s25, 0
	s_mov_b32 s24, s41
                                        ; implicit-def: $vgpr1
	s_cbranch_execnz .LBB15_499
.LBB15_298:
	s_and_not1_b32 vcc_lo, exec_lo, s25
	s_cbranch_vccnz .LBB15_547
.LBB15_299:
	s_wait_xcnt 0x0
	v_mov_b32_e32 v4, 1.0
	s_mov_b32 s0, exec_lo
	s_wait_loadcnt 0x0
	s_delay_alu instid0(VALU_DEP_2)
	v_cmpx_lt_f32_e32 s16, v1
	s_cbranch_execz .LBB15_301
; %bb.300:
	v_add_f32_e32 v1, 0x33d6bf95, v1
	s_delay_alu instid0(VALU_DEP_1) | instskip(NEXT) | instid1(VALU_DEP_1)
	v_div_scale_f32 v3, null, v1, v1, s16
	v_rcp_f32_e32 v4, v3
	v_nop
	s_delay_alu instid0(TRANS32_DEP_1) | instskip(NEXT) | instid1(VALU_DEP_1)
	v_fma_f32 v5, -v3, v4, 1.0
	v_fmac_f32_e32 v4, v5, v4
	v_div_scale_f32 v5, vcc_lo, s16, v1, s16
	s_delay_alu instid0(VALU_DEP_1) | instskip(NEXT) | instid1(VALU_DEP_1)
	v_mul_f32_e32 v6, v5, v4
	v_fma_f32 v7, -v3, v6, v5
	s_delay_alu instid0(VALU_DEP_1) | instskip(NEXT) | instid1(VALU_DEP_1)
	v_fmac_f32_e32 v6, v7, v4
	v_fma_f32 v3, -v3, v6, v5
	s_delay_alu instid0(VALU_DEP_1) | instskip(NEXT) | instid1(VALU_DEP_1)
	v_div_fmas_f32 v3, v3, v4, v6
	v_div_fixup_f32 v4, v3, v1, s16
.LBB15_301:
	s_or_b32 exec_lo, exec_lo, s0
	v_mov_b32_e32 v3, 0
	s_and_b32 s25, s17, 0xff
	s_delay_alu instid0(SALU_CYCLE_1) | instskip(NEXT) | instid1(VALU_DEP_1)
	s_cmp_lt_i32 s25, 11
	v_add_nc_u64_e32 v[2:3], s[4:5], v[2:3]
	s_cbranch_scc1 .LBB15_309
; %bb.302:
	s_and_b32 s26, 0xffff, s25
	s_delay_alu instid0(SALU_CYCLE_1)
	s_cmp_gt_i32 s26, 25
	s_cbranch_scc0 .LBB15_311
; %bb.303:
	s_cmp_gt_i32 s26, 28
	s_cbranch_scc0 .LBB15_313
; %bb.304:
	;; [unrolled: 3-line block ×4, first 2 shown]
	s_mov_b32 s28, 0
	s_mov_b32 s0, -1
	s_cmp_eq_u32 s26, 46
	s_mov_b32 s27, 0
	s_cbranch_scc0 .LBB15_326
; %bb.307:
	v_bfe_u32 v1, v4, 16, 1
	v_cmp_o_f32_e32 vcc_lo, v4, v4
	s_mov_b32 s27, -1
	s_mov_b32 s0, 0
	s_delay_alu instid0(VALU_DEP_2) | instskip(NEXT) | instid1(VALU_DEP_1)
	v_add3_u32 v1, v4, v1, 0x7fff
	v_lshrrev_b32_e32 v1, 16, v1
	s_delay_alu instid0(VALU_DEP_1)
	v_cndmask_b32_e32 v1, 0x7fc0, v1, vcc_lo
	global_store_b32 v[2:3], v1, off
	s_branch .LBB15_326
.LBB15_308:
	s_mov_b32 s26, -1
	s_mov_b32 s25, 0
	s_mov_b32 s24, s41
                                        ; implicit-def: $vgpr1
	s_branch .LBB15_463
.LBB15_309:
	s_mov_b32 s26, -1
	s_mov_b32 s27, 0
	s_mov_b32 s0, s40
	s_branch .LBB15_395
.LBB15_310:
	s_mov_b32 s26, -1
	s_mov_b32 s25, 0
	s_mov_b32 s24, s41
                                        ; implicit-def: $vgpr1
	s_branch .LBB15_444
.LBB15_311:
	s_mov_b32 s28, -1
	s_mov_b32 s27, 0
	s_mov_b32 s0, s40
	s_branch .LBB15_353
.LBB15_312:
	s_mov_b32 s26, -1
	s_mov_b32 s25, 0
	s_mov_b32 s24, s41
                                        ; implicit-def: $vgpr1
	s_branch .LBB15_439
.LBB15_313:
	s_mov_b32 s28, -1
	s_mov_b32 s27, 0
	s_mov_b32 s0, s40
	s_branch .LBB15_336
.LBB15_314:
	s_and_not1_saveexec_b32 s29, s29
	s_cbranch_execz .LBB15_71
.LBB15_315:
	v_add_f32_e64 v1, 0x46000000, |v4|
	s_and_not1_b32 s28, s28, exec_lo
	s_delay_alu instid0(VALU_DEP_1) | instskip(NEXT) | instid1(VALU_DEP_1)
	v_and_b32_e32 v1, 0xff, v1
	v_cmp_ne_u32_e32 vcc_lo, 0, v1
	s_and_b32 s40, vcc_lo, exec_lo
	s_delay_alu instid0(SALU_CYCLE_1)
	s_or_b32 s28, s28, s40
	s_or_b32 exec_lo, exec_lo, s29
	v_mov_b32_e32 v5, 0
	s_and_saveexec_b32 s29, s28
	s_cbranch_execnz .LBB15_72
	s_branch .LBB15_73
.LBB15_316:
	s_mov_b32 s26, -1
	s_mov_b32 s25, 0
	s_mov_b32 s24, s41
	s_branch .LBB15_321
.LBB15_317:
	s_mov_b32 s28, -1
	s_mov_b32 s27, 0
	s_mov_b32 s0, s40
	s_branch .LBB15_332
.LBB15_318:
	s_and_not1_saveexec_b32 s29, s29
	s_cbranch_execz .LBB15_84
.LBB15_319:
	v_add_f32_e64 v1, 0x42800000, |v4|
	s_and_not1_b32 s28, s28, exec_lo
	s_delay_alu instid0(VALU_DEP_1) | instskip(NEXT) | instid1(VALU_DEP_1)
	v_and_b32_e32 v1, 0xff, v1
	v_cmp_ne_u32_e32 vcc_lo, 0, v1
	s_and_b32 s40, vcc_lo, exec_lo
	s_delay_alu instid0(SALU_CYCLE_1)
	s_or_b32 s28, s28, s40
	s_or_b32 exec_lo, exec_lo, s29
	v_mov_b32_e32 v5, 0
	s_and_saveexec_b32 s29, s28
	s_cbranch_execnz .LBB15_85
	s_branch .LBB15_86
.LBB15_320:
	s_mov_b32 s24, -1
	s_mov_b32 s25, 0
.LBB15_321:
                                        ; implicit-def: $vgpr1
.LBB15_322:
	s_and_b32 vcc_lo, exec_lo, s26
	s_cbranch_vccz .LBB15_438
; %bb.323:
	s_cmp_eq_u32 s0, 44
	s_cbranch_scc0 .LBB15_437
; %bb.324:
	s_wait_loadcnt 0x0
	global_load_u8 v1, v[4:5], off
	s_mov_b32 s24, 0
	s_mov_b32 s25, -1
	s_wait_loadcnt 0x0
	v_lshlrev_b32_e32 v3, 23, v1
	v_cmp_ne_u32_e32 vcc_lo, 0xff, v1
	s_delay_alu instid0(VALU_DEP_2) | instskip(SKIP_1) | instid1(VALU_DEP_2)
	v_cndmask_b32_e32 v3, 0x7f800001, v3, vcc_lo
	v_cmp_ne_u32_e32 vcc_lo, 0, v1
	v_cndmask_b32_e32 v1, 0x400000, v3, vcc_lo
	s_branch .LBB15_438
.LBB15_325:
	s_mov_b32 s28, -1
	s_mov_b32 s27, 0
	s_mov_b32 s0, s40
.LBB15_326:
	s_and_b32 vcc_lo, exec_lo, s28
	s_cbranch_vccz .LBB15_331
; %bb.327:
	s_cmp_eq_u32 s26, 44
	s_mov_b32 s0, -1
	s_cbranch_scc0 .LBB15_331
; %bb.328:
	v_bfe_u32 v5, v4, 23, 8
	s_wait_xcnt 0x0
	v_mov_b32_e32 v1, 0xff
	s_mov_b32 s27, exec_lo
	s_delay_alu instid0(VALU_DEP_2)
	v_cmpx_ne_u32_e32 0xff, v5
	s_cbranch_execz .LBB15_330
; %bb.329:
	v_and_b32_e32 v1, 0x400000, v4
	v_and_or_b32 v5, 0x3fffff, v4, v5
	s_delay_alu instid0(VALU_DEP_2) | instskip(NEXT) | instid1(VALU_DEP_2)
	v_cmp_ne_u32_e32 vcc_lo, 0, v1
	v_cmp_ne_u32_e64 s0, 0, v5
	v_lshrrev_b32_e32 v1, 23, v4
	s_and_b32 s0, vcc_lo, s0
	s_delay_alu instid0(SALU_CYCLE_1) | instskip(NEXT) | instid1(VALU_DEP_1)
	v_cndmask_b32_e64 v5, 0, 1, s0
	v_add_nc_u32_e32 v1, v1, v5
.LBB15_330:
	s_or_b32 exec_lo, exec_lo, s27
	s_mov_b32 s27, -1
	s_mov_b32 s0, 0
	global_store_b8 v[2:3], v1, off
.LBB15_331:
	s_mov_b32 s28, 0
.LBB15_332:
	s_delay_alu instid0(SALU_CYCLE_1)
	s_and_b32 vcc_lo, exec_lo, s28
	s_cbranch_vccz .LBB15_335
; %bb.333:
	s_cmp_eq_u32 s26, 29
	s_mov_b32 s0, -1
	s_cbranch_scc0 .LBB15_335
; %bb.334:
	s_wait_xcnt 0x0
	v_trunc_f32_e32 v1, v4
	s_mov_b32 s27, -1
	s_mov_b32 s0, 0
	s_mov_b32 s28, 0
	s_delay_alu instid0(VALU_DEP_1) | instskip(NEXT) | instid1(VALU_DEP_1)
	v_mul_f32_e32 v5, 0x2f800000, v1
	v_floor_f32_e32 v5, v5
	s_delay_alu instid0(VALU_DEP_1) | instskip(SKIP_1) | instid1(VALU_DEP_2)
	v_fmamk_f32 v1, v5, 0xcf800000, v1
	v_cvt_u32_f32_e32 v7, v5
	v_cvt_u32_f32_e32 v6, v1
	global_store_b64 v[2:3], v[6:7], off
	s_branch .LBB15_336
.LBB15_335:
	s_mov_b32 s28, 0
.LBB15_336:
	s_delay_alu instid0(SALU_CYCLE_1)
	s_and_b32 vcc_lo, exec_lo, s28
	s_cbranch_vccz .LBB15_352
; %bb.337:
	s_cmp_lt_i32 s26, 27
	s_mov_b32 s27, -1
	s_cbranch_scc1 .LBB15_343
; %bb.338:
	s_wait_xcnt 0x0
	v_cvt_u32_f32_e32 v1, v4
	s_cmp_gt_i32 s26, 27
	s_cbranch_scc0 .LBB15_340
; %bb.339:
	s_mov_b32 s27, 0
	global_store_b32 v[2:3], v1, off
.LBB15_340:
	s_and_not1_b32 vcc_lo, exec_lo, s27
	s_cbranch_vccnz .LBB15_342
; %bb.341:
	global_store_b16 v[2:3], v1, off
.LBB15_342:
	s_mov_b32 s27, 0
.LBB15_343:
	s_delay_alu instid0(SALU_CYCLE_1)
	s_and_not1_b32 vcc_lo, exec_lo, s27
	s_cbranch_vccnz .LBB15_351
; %bb.344:
	s_wait_xcnt 0x0
	v_and_b32_e32 v1, 0x7fffffff, v4
	v_mov_b32_e32 v5, 0x80
	s_mov_b32 s27, exec_lo
	s_delay_alu instid0(VALU_DEP_2)
	v_cmpx_gt_u32_e32 0x43800000, v1
	s_cbranch_execz .LBB15_350
; %bb.345:
	v_cmp_lt_u32_e32 vcc_lo, 0x3bffffff, v1
	s_mov_b32 s28, 0
                                        ; implicit-def: $vgpr1
	s_and_saveexec_b32 s29, vcc_lo
	s_delay_alu instid0(SALU_CYCLE_1)
	s_xor_b32 s29, exec_lo, s29
	s_cbranch_execz .LBB15_580
; %bb.346:
	v_bfe_u32 v1, v4, 20, 1
	s_mov_b32 s28, exec_lo
	s_delay_alu instid0(VALU_DEP_1) | instskip(NEXT) | instid1(VALU_DEP_1)
	v_add3_u32 v1, v4, v1, 0x487ffff
	v_lshrrev_b32_e32 v1, 20, v1
	s_and_not1_saveexec_b32 s29, s29
	s_cbranch_execnz .LBB15_581
.LBB15_347:
	s_or_b32 exec_lo, exec_lo, s29
	v_mov_b32_e32 v5, 0
	s_and_saveexec_b32 s29, s28
.LBB15_348:
	v_lshrrev_b32_e32 v5, 24, v4
	s_delay_alu instid0(VALU_DEP_1)
	v_and_or_b32 v5, 0x80, v5, v1
.LBB15_349:
	s_or_b32 exec_lo, exec_lo, s29
.LBB15_350:
	s_delay_alu instid0(SALU_CYCLE_1)
	s_or_b32 exec_lo, exec_lo, s27
	global_store_b8 v[2:3], v5, off
.LBB15_351:
	s_mov_b32 s27, -1
.LBB15_352:
	s_mov_b32 s28, 0
.LBB15_353:
	s_delay_alu instid0(SALU_CYCLE_1)
	s_and_b32 vcc_lo, exec_lo, s28
	s_cbranch_vccz .LBB15_394
; %bb.354:
	s_cmp_gt_i32 s26, 22
	s_mov_b32 s28, -1
	s_cbranch_scc0 .LBB15_386
; %bb.355:
	s_cmp_lt_i32 s26, 24
	s_mov_b32 s27, -1
	s_cbranch_scc1 .LBB15_375
; %bb.356:
	s_cmp_gt_i32 s26, 24
	s_cbranch_scc0 .LBB15_364
; %bb.357:
	s_wait_xcnt 0x0
	v_and_b32_e32 v1, 0x7fffffff, v4
	v_mov_b32_e32 v5, 0x80
	s_mov_b32 s27, exec_lo
	s_delay_alu instid0(VALU_DEP_2)
	v_cmpx_gt_u32_e32 0x47800000, v1
	s_cbranch_execz .LBB15_363
; %bb.358:
	v_cmp_lt_u32_e32 vcc_lo, 0x37ffffff, v1
	s_mov_b32 s28, 0
                                        ; implicit-def: $vgpr1
	s_and_saveexec_b32 s29, vcc_lo
	s_delay_alu instid0(SALU_CYCLE_1)
	s_xor_b32 s29, exec_lo, s29
	s_cbranch_execz .LBB15_583
; %bb.359:
	v_bfe_u32 v1, v4, 21, 1
	s_mov_b32 s28, exec_lo
	s_delay_alu instid0(VALU_DEP_1) | instskip(NEXT) | instid1(VALU_DEP_1)
	v_add3_u32 v1, v4, v1, 0x88fffff
	v_lshrrev_b32_e32 v1, 21, v1
	s_and_not1_saveexec_b32 s29, s29
	s_cbranch_execnz .LBB15_584
.LBB15_360:
	s_or_b32 exec_lo, exec_lo, s29
	v_mov_b32_e32 v5, 0
	s_and_saveexec_b32 s29, s28
.LBB15_361:
	v_lshrrev_b32_e32 v5, 24, v4
	s_delay_alu instid0(VALU_DEP_1)
	v_and_or_b32 v5, 0x80, v5, v1
.LBB15_362:
	s_or_b32 exec_lo, exec_lo, s29
.LBB15_363:
	s_delay_alu instid0(SALU_CYCLE_1)
	s_or_b32 exec_lo, exec_lo, s27
	s_mov_b32 s27, 0
	global_store_b8 v[2:3], v5, off
.LBB15_364:
	s_and_b32 vcc_lo, exec_lo, s27
	s_cbranch_vccz .LBB15_374
; %bb.365:
	s_wait_xcnt 0x0
	v_and_b32_e32 v5, 0x7fffffff, v4
	s_mov_b32 s27, exec_lo
                                        ; implicit-def: $vgpr1
	s_delay_alu instid0(VALU_DEP_1)
	v_cmpx_gt_u32_e32 0x43f00000, v5
	s_xor_b32 s27, exec_lo, s27
	s_cbranch_execz .LBB15_371
; %bb.366:
	s_mov_b32 s28, exec_lo
                                        ; implicit-def: $vgpr1
	v_cmpx_lt_u32_e32 0x3c7fffff, v5
	s_xor_b32 s28, exec_lo, s28
; %bb.367:
	v_bfe_u32 v1, v4, 20, 1
	s_delay_alu instid0(VALU_DEP_1) | instskip(NEXT) | instid1(VALU_DEP_1)
	v_add3_u32 v1, v4, v1, 0x407ffff
	v_and_b32_e32 v5, 0xff00000, v1
	v_lshrrev_b32_e32 v1, 20, v1
	s_delay_alu instid0(VALU_DEP_2) | instskip(NEXT) | instid1(VALU_DEP_2)
	v_cmp_ne_u32_e32 vcc_lo, 0x7f00000, v5
	v_cndmask_b32_e32 v1, 0x7e, v1, vcc_lo
; %bb.368:
	s_and_not1_saveexec_b32 s28, s28
; %bb.369:
	v_add_f32_e64 v1, 0x46800000, |v4|
; %bb.370:
	s_or_b32 exec_lo, exec_lo, s28
                                        ; implicit-def: $vgpr5
.LBB15_371:
	s_and_not1_saveexec_b32 s27, s27
; %bb.372:
	v_mov_b32_e32 v1, 0x7f
	v_cmp_lt_u32_e32 vcc_lo, 0x7f800000, v5
	s_delay_alu instid0(VALU_DEP_2)
	v_cndmask_b32_e32 v1, 0x7e, v1, vcc_lo
; %bb.373:
	s_or_b32 exec_lo, exec_lo, s27
	v_lshrrev_b32_e32 v5, 24, v4
	s_delay_alu instid0(VALU_DEP_1)
	v_and_or_b32 v1, 0x80, v5, v1
	global_store_b8 v[2:3], v1, off
.LBB15_374:
	s_mov_b32 s27, 0
.LBB15_375:
	s_delay_alu instid0(SALU_CYCLE_1)
	s_and_not1_b32 vcc_lo, exec_lo, s27
	s_cbranch_vccnz .LBB15_385
; %bb.376:
	s_wait_xcnt 0x0
	v_and_b32_e32 v5, 0x7fffffff, v4
	s_mov_b32 s27, exec_lo
                                        ; implicit-def: $vgpr1
	s_delay_alu instid0(VALU_DEP_1)
	v_cmpx_gt_u32_e32 0x47800000, v5
	s_xor_b32 s27, exec_lo, s27
	s_cbranch_execz .LBB15_382
; %bb.377:
	s_mov_b32 s28, exec_lo
                                        ; implicit-def: $vgpr1
	v_cmpx_lt_u32_e32 0x387fffff, v5
	s_xor_b32 s28, exec_lo, s28
; %bb.378:
	v_bfe_u32 v1, v4, 21, 1
	s_delay_alu instid0(VALU_DEP_1) | instskip(NEXT) | instid1(VALU_DEP_1)
	v_add3_u32 v1, v4, v1, 0x80fffff
	v_lshrrev_b32_e32 v1, 21, v1
; %bb.379:
	s_and_not1_saveexec_b32 s28, s28
; %bb.380:
	v_add_f32_e64 v1, 0x43000000, |v4|
; %bb.381:
	s_or_b32 exec_lo, exec_lo, s28
                                        ; implicit-def: $vgpr5
.LBB15_382:
	s_and_not1_saveexec_b32 s27, s27
; %bb.383:
	v_mov_b32_e32 v1, 0x7f
	v_cmp_lt_u32_e32 vcc_lo, 0x7f800000, v5
	s_delay_alu instid0(VALU_DEP_2)
	v_cndmask_b32_e32 v1, 0x7c, v1, vcc_lo
; %bb.384:
	s_or_b32 exec_lo, exec_lo, s27
	v_lshrrev_b32_e32 v5, 24, v4
	s_delay_alu instid0(VALU_DEP_1)
	v_and_or_b32 v1, 0x80, v5, v1
	global_store_b8 v[2:3], v1, off
.LBB15_385:
	s_mov_b32 s28, 0
	s_mov_b32 s27, -1
.LBB15_386:
	s_and_not1_b32 vcc_lo, exec_lo, s28
	s_cbranch_vccnz .LBB15_394
; %bb.387:
	s_cmp_gt_i32 s26, 14
	s_mov_b32 s28, -1
	s_cbranch_scc0 .LBB15_391
; %bb.388:
	s_cmp_eq_u32 s26, 15
	s_mov_b32 s0, -1
	s_cbranch_scc0 .LBB15_390
; %bb.389:
	s_wait_xcnt 0x0
	v_bfe_u32 v1, v4, 16, 1
	v_cmp_o_f32_e32 vcc_lo, v4, v4
	s_mov_b32 s27, -1
	s_mov_b32 s0, 0
	s_delay_alu instid0(VALU_DEP_2) | instskip(NEXT) | instid1(VALU_DEP_1)
	v_add3_u32 v1, v4, v1, 0x7fff
	v_lshrrev_b32_e32 v1, 16, v1
	s_delay_alu instid0(VALU_DEP_1)
	v_cndmask_b32_e32 v1, 0x7fc0, v1, vcc_lo
	global_store_b16 v[2:3], v1, off
.LBB15_390:
	s_mov_b32 s28, 0
.LBB15_391:
	s_delay_alu instid0(SALU_CYCLE_1)
	s_and_b32 vcc_lo, exec_lo, s28
	s_cbranch_vccz .LBB15_394
; %bb.392:
	s_cmp_eq_u32 s26, 11
	s_mov_b32 s0, -1
	s_cbranch_scc0 .LBB15_394
; %bb.393:
	v_cmp_neq_f32_e32 vcc_lo, 0, v4
	s_mov_b32 s0, 0
	s_mov_b32 s27, -1
	s_wait_xcnt 0x0
	v_cndmask_b32_e64 v1, 0, 1, vcc_lo
	global_store_b8 v[2:3], v1, off
.LBB15_394:
	s_mov_b32 s26, 0
.LBB15_395:
	s_delay_alu instid0(SALU_CYCLE_1)
	s_and_b32 vcc_lo, exec_lo, s26
	s_cbranch_vccz .LBB15_434
; %bb.396:
	s_and_b32 s25, 0xffff, s25
	s_mov_b32 s26, -1
	s_cmp_lt_i32 s25, 5
	s_cbranch_scc1 .LBB15_417
; %bb.397:
	s_cmp_lt_i32 s25, 8
	s_cbranch_scc1 .LBB15_407
; %bb.398:
	;; [unrolled: 3-line block ×3, first 2 shown]
	s_cmp_gt_i32 s25, 9
	s_cbranch_scc0 .LBB15_401
; %bb.400:
	s_wait_xcnt 0x0
	v_cvt_f64_f32_e32 v[6:7], v4
	v_mov_b32_e32 v8, 0
	s_mov_b32 s26, 0
	s_delay_alu instid0(VALU_DEP_1)
	v_mov_b32_e32 v9, v8
	global_store_b128 v[2:3], v[6:9], off
.LBB15_401:
	s_and_not1_b32 vcc_lo, exec_lo, s26
	s_cbranch_vccnz .LBB15_403
; %bb.402:
	s_wait_xcnt 0x0
	v_mov_b32_e32 v5, 0
	global_store_b64 v[2:3], v[4:5], off
.LBB15_403:
	s_mov_b32 s26, 0
.LBB15_404:
	s_delay_alu instid0(SALU_CYCLE_1)
	s_and_not1_b32 vcc_lo, exec_lo, s26
	s_cbranch_vccnz .LBB15_406
; %bb.405:
	s_wait_xcnt 0x0
	v_cvt_f16_f32_e32 v1, v4
	s_delay_alu instid0(VALU_DEP_1)
	v_and_b32_e32 v1, 0xffff, v1
	global_store_b32 v[2:3], v1, off
.LBB15_406:
	s_mov_b32 s26, 0
.LBB15_407:
	s_delay_alu instid0(SALU_CYCLE_1)
	s_and_not1_b32 vcc_lo, exec_lo, s26
	s_cbranch_vccnz .LBB15_416
; %bb.408:
	s_cmp_lt_i32 s25, 6
	s_mov_b32 s26, -1
	s_cbranch_scc1 .LBB15_414
; %bb.409:
	s_cmp_gt_i32 s25, 6
	s_cbranch_scc0 .LBB15_411
; %bb.410:
	s_wait_xcnt 0x0
	v_cvt_f64_f32_e32 v[6:7], v4
	s_mov_b32 s26, 0
	global_store_b64 v[2:3], v[6:7], off
.LBB15_411:
	s_and_not1_b32 vcc_lo, exec_lo, s26
	s_cbranch_vccnz .LBB15_413
; %bb.412:
	global_store_b32 v[2:3], v4, off
.LBB15_413:
	s_mov_b32 s26, 0
.LBB15_414:
	s_delay_alu instid0(SALU_CYCLE_1)
	s_and_not1_b32 vcc_lo, exec_lo, s26
	s_cbranch_vccnz .LBB15_416
; %bb.415:
	s_wait_xcnt 0x0
	v_cvt_f16_f32_e32 v1, v4
	global_store_b16 v[2:3], v1, off
.LBB15_416:
	s_mov_b32 s26, 0
.LBB15_417:
	s_delay_alu instid0(SALU_CYCLE_1)
	s_and_not1_b32 vcc_lo, exec_lo, s26
	s_cbranch_vccnz .LBB15_433
; %bb.418:
	s_cmp_lt_i32 s25, 2
	s_mov_b32 s26, -1
	s_cbranch_scc1 .LBB15_428
; %bb.419:
	s_cmp_lt_i32 s25, 3
	s_cbranch_scc1 .LBB15_425
; %bb.420:
	s_cmp_gt_i32 s25, 3
	s_cbranch_scc0 .LBB15_422
; %bb.421:
	s_wait_xcnt 0x0
	v_trunc_f32_e32 v1, v4
	s_mov_b32 s26, 0
	s_delay_alu instid0(VALU_DEP_1) | instskip(SKIP_1) | instid1(VALU_DEP_2)
	v_mul_f32_e64 v5, 0x2f800000, |v1|
	v_ashrrev_i32_e32 v6, 31, v1
	v_floor_f32_e32 v5, v5
	s_delay_alu instid0(VALU_DEP_1) | instskip(SKIP_1) | instid1(VALU_DEP_2)
	v_fma_f32 v7, 0xcf800000, v5, |v1|
	v_cvt_u32_f32_e32 v1, v5
	v_cvt_u32_f32_e32 v5, v7
	s_delay_alu instid0(VALU_DEP_2) | instskip(NEXT) | instid1(VALU_DEP_2)
	v_dual_mov_b32 v7, v6 :: v_dual_bitop2_b32 v9, v1, v6 bitop3:0x14
	v_xor_b32_e32 v8, v5, v6
	s_delay_alu instid0(VALU_DEP_1)
	v_sub_nc_u64_e32 v[6:7], v[8:9], v[6:7]
	global_store_b64 v[2:3], v[6:7], off
.LBB15_422:
	s_and_not1_b32 vcc_lo, exec_lo, s26
	s_cbranch_vccnz .LBB15_424
; %bb.423:
	s_wait_xcnt 0x0
	v_cvt_i32_f32_e32 v1, v4
	global_store_b32 v[2:3], v1, off
.LBB15_424:
	s_mov_b32 s26, 0
.LBB15_425:
	s_delay_alu instid0(SALU_CYCLE_1)
	s_and_not1_b32 vcc_lo, exec_lo, s26
	s_cbranch_vccnz .LBB15_427
; %bb.426:
	s_wait_xcnt 0x0
	v_cvt_i32_f32_e32 v1, v4
	global_store_b16 v[2:3], v1, off
.LBB15_427:
	s_mov_b32 s26, 0
.LBB15_428:
	s_delay_alu instid0(SALU_CYCLE_1)
	s_and_not1_b32 vcc_lo, exec_lo, s26
	s_cbranch_vccnz .LBB15_433
; %bb.429:
	s_cmp_gt_i32 s25, 0
	s_mov_b32 s25, -1
	s_cbranch_scc0 .LBB15_431
; %bb.430:
	s_wait_xcnt 0x0
	v_cvt_i32_f32_e32 v1, v4
	s_mov_b32 s25, 0
	global_store_b8 v[2:3], v1, off
.LBB15_431:
	s_and_not1_b32 vcc_lo, exec_lo, s25
	s_cbranch_vccnz .LBB15_433
; %bb.432:
	s_wait_xcnt 0x0
	v_trunc_f32_e32 v1, v4
	s_delay_alu instid0(VALU_DEP_1) | instskip(NEXT) | instid1(VALU_DEP_1)
	v_mul_f32_e64 v4, 0x2f800000, |v1|
	v_floor_f32_e32 v4, v4
	s_delay_alu instid0(VALU_DEP_1) | instskip(SKIP_1) | instid1(VALU_DEP_2)
	v_fma_f32 v4, 0xcf800000, v4, |v1|
	v_ashrrev_i32_e32 v1, 31, v1
	v_cvt_u32_f32_e32 v4, v4
	s_delay_alu instid0(VALU_DEP_1) | instskip(NEXT) | instid1(VALU_DEP_1)
	v_xor_b32_e32 v4, v4, v1
	v_sub_nc_u32_e32 v1, v4, v1
	global_store_b8 v[2:3], v1, off
.LBB15_433:
	s_mov_b32 s27, -1
.LBB15_434:
	s_delay_alu instid0(SALU_CYCLE_1)
	s_and_not1_b32 vcc_lo, exec_lo, s27
	s_cbranch_vccnz .LBB15_436
; %bb.435:
	v_add_nc_u32_e32 v0, 0x80, v0
	s_mov_b32 s25, -1
	s_branch .LBB15_549
.LBB15_436:
	s_mov_b32 s25, 0
	s_branch .LBB15_548
.LBB15_437:
	s_mov_b32 s24, -1
                                        ; implicit-def: $vgpr1
.LBB15_438:
	s_mov_b32 s26, 0
.LBB15_439:
	s_delay_alu instid0(SALU_CYCLE_1)
	s_and_b32 vcc_lo, exec_lo, s26
	s_cbranch_vccz .LBB15_443
; %bb.440:
	s_cmp_eq_u32 s0, 29
	s_cbranch_scc0 .LBB15_442
; %bb.441:
	global_load_b64 v[6:7], v[4:5], off
	s_mov_b32 s25, -1
	s_mov_b32 s24, 0
	s_mov_b32 s26, 0
	s_wait_loadcnt 0x0
	v_clz_i32_u32_e32 v1, v7
	s_delay_alu instid0(VALU_DEP_1) | instskip(NEXT) | instid1(VALU_DEP_1)
	v_min_u32_e32 v1, 32, v1
	v_lshlrev_b64_e32 v[6:7], v1, v[6:7]
	v_sub_nc_u32_e32 v1, 32, v1
	s_delay_alu instid0(VALU_DEP_2) | instskip(NEXT) | instid1(VALU_DEP_1)
	v_min_u32_e32 v3, 1, v6
	v_or_b32_e32 v3, v7, v3
	s_delay_alu instid0(VALU_DEP_1) | instskip(NEXT) | instid1(VALU_DEP_1)
	v_cvt_f32_u32_e32 v3, v3
	v_ldexp_f32 v1, v3, v1
	s_branch .LBB15_444
.LBB15_442:
	s_mov_b32 s24, -1
                                        ; implicit-def: $vgpr1
.LBB15_443:
	s_mov_b32 s26, 0
.LBB15_444:
	s_delay_alu instid0(SALU_CYCLE_1)
	s_and_b32 vcc_lo, exec_lo, s26
	s_cbranch_vccz .LBB15_462
; %bb.445:
	s_cmp_lt_i32 s0, 27
	s_cbranch_scc1 .LBB15_448
; %bb.446:
	s_cmp_gt_i32 s0, 27
	s_cbranch_scc0 .LBB15_449
; %bb.447:
	s_wait_loadcnt 0x0
	global_load_b32 v1, v[4:5], off
	s_mov_b32 s25, 0
	s_wait_loadcnt 0x0
	v_cvt_f32_u32_e32 v1, v1
	s_branch .LBB15_450
.LBB15_448:
	s_mov_b32 s25, -1
                                        ; implicit-def: $vgpr1
	s_branch .LBB15_453
.LBB15_449:
	s_mov_b32 s25, -1
                                        ; implicit-def: $vgpr1
.LBB15_450:
	s_delay_alu instid0(SALU_CYCLE_1)
	s_and_not1_b32 vcc_lo, exec_lo, s25
	s_cbranch_vccnz .LBB15_452
; %bb.451:
	s_wait_loadcnt 0x0
	global_load_u16 v1, v[4:5], off
	s_wait_loadcnt 0x0
	v_cvt_f32_u32_e32 v1, v1
.LBB15_452:
	s_mov_b32 s25, 0
.LBB15_453:
	s_delay_alu instid0(SALU_CYCLE_1)
	s_and_not1_b32 vcc_lo, exec_lo, s25
	s_cbranch_vccnz .LBB15_461
; %bb.454:
	global_load_u8 v3, v[4:5], off
	s_mov_b32 s25, 0
	s_mov_b32 s26, exec_lo
	s_wait_loadcnt 0x0
	v_cmpx_lt_i16_e32 0x7f, v3
	s_xor_b32 s26, exec_lo, s26
	s_cbranch_execz .LBB15_475
; %bb.455:
	s_mov_b32 s25, -1
	s_mov_b32 s27, exec_lo
	v_cmpx_eq_u16_e32 0x80, v3
; %bb.456:
	s_xor_b32 s25, exec_lo, -1
; %bb.457:
	s_or_b32 exec_lo, exec_lo, s27
	s_delay_alu instid0(SALU_CYCLE_1)
	s_and_b32 s25, s25, exec_lo
	s_or_saveexec_b32 s26, s26
	v_mov_b32_e32 v1, 0x7f800001
	s_xor_b32 exec_lo, exec_lo, s26
	s_cbranch_execnz .LBB15_476
.LBB15_458:
	s_or_b32 exec_lo, exec_lo, s26
	s_and_saveexec_b32 s26, s25
	s_cbranch_execz .LBB15_460
.LBB15_459:
	v_and_b32_e32 v1, 0xffff, v3
	s_delay_alu instid0(VALU_DEP_1) | instskip(SKIP_1) | instid1(VALU_DEP_2)
	v_and_b32_e32 v6, 7, v1
	v_bfe_u32 v9, v1, 3, 4
	v_clz_i32_u32_e32 v7, v6
	s_delay_alu instid0(VALU_DEP_2) | instskip(NEXT) | instid1(VALU_DEP_2)
	v_cmp_eq_u32_e32 vcc_lo, 0, v9
	v_min_u32_e32 v7, 32, v7
	s_delay_alu instid0(VALU_DEP_1) | instskip(NEXT) | instid1(VALU_DEP_1)
	v_subrev_nc_u32_e32 v8, 28, v7
	v_dual_lshlrev_b32 v1, v8, v1 :: v_dual_sub_nc_u32 v7, 29, v7
	s_delay_alu instid0(VALU_DEP_1) | instskip(NEXT) | instid1(VALU_DEP_1)
	v_dual_lshlrev_b32 v3, 24, v3 :: v_dual_bitop2_b32 v1, 7, v1 bitop3:0x40
	v_dual_cndmask_b32 v1, v6, v1, vcc_lo :: v_dual_cndmask_b32 v7, v9, v7, vcc_lo
	s_delay_alu instid0(VALU_DEP_2) | instskip(NEXT) | instid1(VALU_DEP_2)
	v_and_b32_e32 v3, 0x80000000, v3
	v_lshlrev_b32_e32 v1, 20, v1
	s_delay_alu instid0(VALU_DEP_3) | instskip(NEXT) | instid1(VALU_DEP_1)
	v_lshl_add_u32 v6, v7, 23, 0x3b800000
	v_or3_b32 v1, v3, v6, v1
.LBB15_460:
	s_or_b32 exec_lo, exec_lo, s26
.LBB15_461:
	s_mov_b32 s25, -1
.LBB15_462:
	s_mov_b32 s26, 0
.LBB15_463:
	s_delay_alu instid0(SALU_CYCLE_1)
	s_and_b32 vcc_lo, exec_lo, s26
	s_cbranch_vccz .LBB15_498
; %bb.464:
	s_cmp_gt_i32 s0, 22
	s_cbranch_scc0 .LBB15_474
; %bb.465:
	s_cmp_lt_i32 s0, 24
	s_cbranch_scc1 .LBB15_477
; %bb.466:
	s_cmp_gt_i32 s0, 24
	s_cbranch_scc0 .LBB15_478
; %bb.467:
	global_load_u8 v3, v[4:5], off
	s_mov_b32 s25, 0
	s_mov_b32 s26, exec_lo
	s_wait_loadcnt 0x0
	v_cmpx_lt_i16_e32 0x7f, v3
	s_xor_b32 s26, exec_lo, s26
	s_cbranch_execz .LBB15_490
; %bb.468:
	s_mov_b32 s25, -1
	s_mov_b32 s27, exec_lo
	v_cmpx_eq_u16_e32 0x80, v3
; %bb.469:
	s_xor_b32 s25, exec_lo, -1
; %bb.470:
	s_or_b32 exec_lo, exec_lo, s27
	s_delay_alu instid0(SALU_CYCLE_1)
	s_and_b32 s25, s25, exec_lo
	s_or_saveexec_b32 s26, s26
	v_mov_b32_e32 v1, 0x7f800001
	s_xor_b32 exec_lo, exec_lo, s26
	s_cbranch_execnz .LBB15_491
.LBB15_471:
	s_or_b32 exec_lo, exec_lo, s26
	s_and_saveexec_b32 s26, s25
	s_cbranch_execz .LBB15_473
.LBB15_472:
	v_and_b32_e32 v1, 0xffff, v3
	s_delay_alu instid0(VALU_DEP_1) | instskip(SKIP_1) | instid1(VALU_DEP_2)
	v_and_b32_e32 v6, 3, v1
	v_bfe_u32 v9, v1, 2, 5
	v_clz_i32_u32_e32 v7, v6
	s_delay_alu instid0(VALU_DEP_2) | instskip(NEXT) | instid1(VALU_DEP_2)
	v_cmp_eq_u32_e32 vcc_lo, 0, v9
	v_min_u32_e32 v7, 32, v7
	s_delay_alu instid0(VALU_DEP_1) | instskip(NEXT) | instid1(VALU_DEP_1)
	v_subrev_nc_u32_e32 v8, 29, v7
	v_dual_lshlrev_b32 v1, v8, v1 :: v_dual_sub_nc_u32 v7, 30, v7
	s_delay_alu instid0(VALU_DEP_1) | instskip(NEXT) | instid1(VALU_DEP_1)
	v_dual_lshlrev_b32 v3, 24, v3 :: v_dual_bitop2_b32 v1, 3, v1 bitop3:0x40
	v_dual_cndmask_b32 v1, v6, v1, vcc_lo :: v_dual_cndmask_b32 v7, v9, v7, vcc_lo
	s_delay_alu instid0(VALU_DEP_2) | instskip(NEXT) | instid1(VALU_DEP_2)
	v_and_b32_e32 v3, 0x80000000, v3
	v_lshlrev_b32_e32 v1, 21, v1
	s_delay_alu instid0(VALU_DEP_3) | instskip(NEXT) | instid1(VALU_DEP_1)
	v_lshl_add_u32 v6, v7, 23, 0x37800000
	v_or3_b32 v1, v3, v6, v1
.LBB15_473:
	s_or_b32 exec_lo, exec_lo, s26
	s_mov_b32 s25, 0
	s_branch .LBB15_479
.LBB15_474:
	s_mov_b32 s26, -1
                                        ; implicit-def: $vgpr1
	s_branch .LBB15_485
.LBB15_475:
	s_or_saveexec_b32 s26, s26
	v_mov_b32_e32 v1, 0x7f800001
	s_xor_b32 exec_lo, exec_lo, s26
	s_cbranch_execz .LBB15_458
.LBB15_476:
	v_cmp_ne_u16_e32 vcc_lo, 0, v3
	v_mov_b32_e32 v1, 0
	s_and_not1_b32 s25, s25, exec_lo
	s_and_b32 s27, vcc_lo, exec_lo
	s_delay_alu instid0(SALU_CYCLE_1)
	s_or_b32 s25, s25, s27
	s_or_b32 exec_lo, exec_lo, s26
	s_and_saveexec_b32 s26, s25
	s_cbranch_execnz .LBB15_459
	s_branch .LBB15_460
.LBB15_477:
	s_mov_b32 s25, -1
                                        ; implicit-def: $vgpr1
	s_branch .LBB15_482
.LBB15_478:
	s_mov_b32 s25, -1
                                        ; implicit-def: $vgpr1
.LBB15_479:
	s_delay_alu instid0(SALU_CYCLE_1)
	s_and_b32 vcc_lo, exec_lo, s25
	s_cbranch_vccz .LBB15_481
; %bb.480:
	s_wait_loadcnt 0x0
	global_load_u8 v1, v[4:5], off
	s_wait_loadcnt 0x0
	v_lshlrev_b32_e32 v1, 24, v1
	s_delay_alu instid0(VALU_DEP_1) | instskip(NEXT) | instid1(VALU_DEP_1)
	v_and_b32_e32 v3, 0x7f000000, v1
	v_clz_i32_u32_e32 v6, v3
	v_cmp_ne_u32_e32 vcc_lo, 0, v3
	v_add_nc_u32_e32 v8, 0x1000000, v3
	s_delay_alu instid0(VALU_DEP_3) | instskip(NEXT) | instid1(VALU_DEP_1)
	v_min_u32_e32 v6, 32, v6
	v_sub_nc_u32_e64 v6, v6, 4 clamp
	s_delay_alu instid0(VALU_DEP_1) | instskip(NEXT) | instid1(VALU_DEP_1)
	v_dual_lshlrev_b32 v7, v6, v3 :: v_dual_lshlrev_b32 v6, 23, v6
	v_lshrrev_b32_e32 v7, 4, v7
	s_delay_alu instid0(VALU_DEP_1) | instskip(NEXT) | instid1(VALU_DEP_1)
	v_dual_sub_nc_u32 v6, v7, v6 :: v_dual_ashrrev_i32 v7, 8, v8
	v_add_nc_u32_e32 v6, 0x3c000000, v6
	s_delay_alu instid0(VALU_DEP_1) | instskip(NEXT) | instid1(VALU_DEP_1)
	v_and_or_b32 v6, 0x7f800000, v7, v6
	v_cndmask_b32_e32 v3, 0, v6, vcc_lo
	s_delay_alu instid0(VALU_DEP_1)
	v_and_or_b32 v1, 0x80000000, v1, v3
.LBB15_481:
	s_mov_b32 s25, 0
.LBB15_482:
	s_delay_alu instid0(SALU_CYCLE_1)
	s_and_not1_b32 vcc_lo, exec_lo, s25
	s_cbranch_vccnz .LBB15_484
; %bb.483:
	s_wait_loadcnt 0x0
	global_load_u8 v1, v[4:5], off
	s_wait_loadcnt 0x0
	v_lshlrev_b32_e32 v3, 25, v1
	v_lshlrev_b16 v1, 8, v1
	s_delay_alu instid0(VALU_DEP_1) | instskip(SKIP_1) | instid1(VALU_DEP_2)
	v_and_or_b32 v7, 0x7f00, v1, 0.5
	v_bfe_i32 v1, v1, 0, 16
	v_add_f32_e32 v7, -0.5, v7
	v_lshrrev_b32_e32 v6, 4, v3
	v_cmp_gt_u32_e32 vcc_lo, 0x8000000, v3
	s_delay_alu instid0(VALU_DEP_2) | instskip(NEXT) | instid1(VALU_DEP_1)
	v_or_b32_e32 v6, 0x70000000, v6
	v_mul_f32_e32 v6, 0x7800000, v6
	s_delay_alu instid0(VALU_DEP_1) | instskip(NEXT) | instid1(VALU_DEP_1)
	v_cndmask_b32_e32 v3, v6, v7, vcc_lo
	v_and_or_b32 v1, 0x80000000, v1, v3
.LBB15_484:
	s_mov_b32 s26, 0
	s_mov_b32 s25, -1
.LBB15_485:
	s_and_not1_b32 vcc_lo, exec_lo, s26
	s_cbranch_vccnz .LBB15_498
; %bb.486:
	s_cmp_gt_i32 s0, 14
	s_cbranch_scc0 .LBB15_489
; %bb.487:
	s_cmp_eq_u32 s0, 15
	s_cbranch_scc0 .LBB15_492
; %bb.488:
	s_wait_loadcnt 0x0
	global_load_u16 v1, v[4:5], off
	s_mov_b32 s25, -1
	s_mov_b32 s24, 0
	s_wait_loadcnt 0x0
	v_lshlrev_b32_e32 v1, 16, v1
	s_branch .LBB15_493
.LBB15_489:
	s_mov_b32 s26, -1
                                        ; implicit-def: $vgpr1
	s_branch .LBB15_494
.LBB15_490:
	s_or_saveexec_b32 s26, s26
	v_mov_b32_e32 v1, 0x7f800001
	s_xor_b32 exec_lo, exec_lo, s26
	s_cbranch_execz .LBB15_471
.LBB15_491:
	v_cmp_ne_u16_e32 vcc_lo, 0, v3
	v_mov_b32_e32 v1, 0
	s_and_not1_b32 s25, s25, exec_lo
	s_and_b32 s27, vcc_lo, exec_lo
	s_delay_alu instid0(SALU_CYCLE_1)
	s_or_b32 s25, s25, s27
	s_or_b32 exec_lo, exec_lo, s26
	s_and_saveexec_b32 s26, s25
	s_cbranch_execnz .LBB15_472
	s_branch .LBB15_473
.LBB15_492:
	s_mov_b32 s24, -1
                                        ; implicit-def: $vgpr1
.LBB15_493:
	s_mov_b32 s26, 0
.LBB15_494:
	s_delay_alu instid0(SALU_CYCLE_1)
	s_and_b32 vcc_lo, exec_lo, s26
	s_cbranch_vccz .LBB15_498
; %bb.495:
	s_cmp_eq_u32 s0, 11
	s_cbranch_scc0 .LBB15_497
; %bb.496:
	s_wait_loadcnt 0x0
	global_load_u8 v1, v[4:5], off
	s_mov_b32 s24, 0
	s_mov_b32 s25, -1
	s_wait_loadcnt 0x0
	v_cmp_ne_u16_e32 vcc_lo, 0, v1
	v_cndmask_b32_e64 v1, 0, 1.0, vcc_lo
	s_branch .LBB15_498
.LBB15_497:
	s_mov_b32 s24, -1
                                        ; implicit-def: $vgpr1
.LBB15_498:
	s_branch .LBB15_298
.LBB15_499:
	s_cmp_lt_i32 s0, 5
	s_cbranch_scc1 .LBB15_504
; %bb.500:
	s_cmp_lt_i32 s0, 8
	s_cbranch_scc1 .LBB15_505
; %bb.501:
	;; [unrolled: 3-line block ×3, first 2 shown]
	s_cmp_gt_i32 s0, 9
	s_cbranch_scc0 .LBB15_507
; %bb.503:
	global_load_b64 v[6:7], v[4:5], off
	s_mov_b32 s25, 0
	s_wait_loadcnt 0x0
	v_cvt_f32_f64_e32 v1, v[6:7]
	s_branch .LBB15_508
.LBB15_504:
	s_mov_b32 s25, -1
                                        ; implicit-def: $vgpr1
	s_branch .LBB15_526
.LBB15_505:
	s_mov_b32 s25, -1
                                        ; implicit-def: $vgpr1
	s_branch .LBB15_514
.LBB15_506:
	s_mov_b32 s25, -1
                                        ; implicit-def: $vgpr1
	s_branch .LBB15_511
.LBB15_507:
	s_mov_b32 s25, -1
                                        ; implicit-def: $vgpr1
.LBB15_508:
	s_delay_alu instid0(SALU_CYCLE_1)
	s_and_not1_b32 vcc_lo, exec_lo, s25
	s_cbranch_vccnz .LBB15_510
; %bb.509:
	s_wait_loadcnt 0x0
	global_load_b32 v1, v[4:5], off
.LBB15_510:
	s_mov_b32 s25, 0
.LBB15_511:
	s_delay_alu instid0(SALU_CYCLE_1)
	s_and_not1_b32 vcc_lo, exec_lo, s25
	s_cbranch_vccnz .LBB15_513
; %bb.512:
	s_wait_loadcnt 0x0
	global_load_b32 v1, v[4:5], off
	s_wait_loadcnt 0x0
	v_cvt_f32_f16_e32 v1, v1
.LBB15_513:
	s_mov_b32 s25, 0
.LBB15_514:
	s_delay_alu instid0(SALU_CYCLE_1)
	s_and_not1_b32 vcc_lo, exec_lo, s25
	s_cbranch_vccnz .LBB15_525
; %bb.515:
	s_cmp_lt_i32 s0, 6
	s_cbranch_scc1 .LBB15_518
; %bb.516:
	s_cmp_gt_i32 s0, 6
	s_cbranch_scc0 .LBB15_519
; %bb.517:
	global_load_b64 v[6:7], v[4:5], off
	s_mov_b32 s25, 0
	s_wait_loadcnt 0x0
	v_cvt_f32_f64_e32 v1, v[6:7]
	s_branch .LBB15_520
.LBB15_518:
	s_mov_b32 s25, -1
                                        ; implicit-def: $vgpr1
	s_branch .LBB15_523
.LBB15_519:
	s_mov_b32 s25, -1
                                        ; implicit-def: $vgpr1
.LBB15_520:
	s_delay_alu instid0(SALU_CYCLE_1)
	s_and_not1_b32 vcc_lo, exec_lo, s25
	s_cbranch_vccnz .LBB15_522
; %bb.521:
	s_wait_loadcnt 0x0
	global_load_b32 v1, v[4:5], off
.LBB15_522:
	s_mov_b32 s25, 0
.LBB15_523:
	s_delay_alu instid0(SALU_CYCLE_1)
	s_and_not1_b32 vcc_lo, exec_lo, s25
	s_cbranch_vccnz .LBB15_525
; %bb.524:
	s_wait_loadcnt 0x0
	global_load_u16 v1, v[4:5], off
	s_wait_loadcnt 0x0
	v_cvt_f32_f16_e32 v1, v1
.LBB15_525:
	s_mov_b32 s25, 0
.LBB15_526:
	s_delay_alu instid0(SALU_CYCLE_1)
	s_and_not1_b32 vcc_lo, exec_lo, s25
	s_cbranch_vccnz .LBB15_546
; %bb.527:
	s_cmp_lt_i32 s0, 2
	s_cbranch_scc1 .LBB15_531
; %bb.528:
	s_cmp_lt_i32 s0, 3
	s_cbranch_scc1 .LBB15_532
; %bb.529:
	s_cmp_gt_i32 s0, 3
	s_cbranch_scc0 .LBB15_533
; %bb.530:
	global_load_b64 v[6:7], v[4:5], off
	s_mov_b32 s25, 0
	s_wait_loadcnt 0x0
	v_xor_b32_e32 v1, v6, v7
	v_cls_i32_e32 v3, v7
	s_delay_alu instid0(VALU_DEP_2) | instskip(NEXT) | instid1(VALU_DEP_1)
	v_ashrrev_i32_e32 v1, 31, v1
	v_add_nc_u32_e32 v1, 32, v1
	s_delay_alu instid0(VALU_DEP_1) | instskip(NEXT) | instid1(VALU_DEP_1)
	v_add_min_u32_e64 v1, v3, -1, v1
	v_lshlrev_b64_e32 v[6:7], v1, v[6:7]
	v_sub_nc_u32_e32 v1, 32, v1
	s_delay_alu instid0(VALU_DEP_2) | instskip(NEXT) | instid1(VALU_DEP_1)
	v_min_u32_e32 v3, 1, v6
	v_or_b32_e32 v3, v7, v3
	s_delay_alu instid0(VALU_DEP_1) | instskip(NEXT) | instid1(VALU_DEP_1)
	v_cvt_f32_i32_e32 v3, v3
	v_ldexp_f32 v1, v3, v1
	s_branch .LBB15_534
.LBB15_531:
	s_mov_b32 s25, -1
                                        ; implicit-def: $vgpr1
	s_branch .LBB15_540
.LBB15_532:
	s_mov_b32 s25, -1
                                        ; implicit-def: $vgpr1
	s_branch .LBB15_537
.LBB15_533:
	s_mov_b32 s25, -1
                                        ; implicit-def: $vgpr1
.LBB15_534:
	s_delay_alu instid0(SALU_CYCLE_1)
	s_and_not1_b32 vcc_lo, exec_lo, s25
	s_cbranch_vccnz .LBB15_536
; %bb.535:
	s_wait_loadcnt 0x0
	global_load_b32 v1, v[4:5], off
	s_wait_loadcnt 0x0
	v_cvt_f32_i32_e32 v1, v1
.LBB15_536:
	s_mov_b32 s25, 0
.LBB15_537:
	s_delay_alu instid0(SALU_CYCLE_1)
	s_and_not1_b32 vcc_lo, exec_lo, s25
	s_cbranch_vccnz .LBB15_539
; %bb.538:
	s_wait_loadcnt 0x0
	global_load_i16 v1, v[4:5], off
	s_wait_loadcnt 0x0
	v_cvt_f32_i32_e32 v1, v1
.LBB15_539:
	s_mov_b32 s25, 0
.LBB15_540:
	s_delay_alu instid0(SALU_CYCLE_1)
	s_and_not1_b32 vcc_lo, exec_lo, s25
	s_cbranch_vccnz .LBB15_546
; %bb.541:
	s_cmp_gt_i32 s0, 0
	s_mov_b32 s0, 0
	s_cbranch_scc0 .LBB15_543
; %bb.542:
	s_wait_loadcnt 0x0
	global_load_i8 v1, v[4:5], off
	s_wait_loadcnt 0x0
	v_cvt_f32_i32_e32 v1, v1
	s_branch .LBB15_544
.LBB15_543:
	s_mov_b32 s0, -1
                                        ; implicit-def: $vgpr1
.LBB15_544:
	s_delay_alu instid0(SALU_CYCLE_1)
	s_and_not1_b32 vcc_lo, exec_lo, s0
	s_cbranch_vccnz .LBB15_546
; %bb.545:
	s_wait_loadcnt 0x0
	global_load_u8 v1, v[4:5], off
	s_wait_loadcnt 0x0
	v_cvt_f32_ubyte0_e32 v1, v1
.LBB15_546:
	s_branch .LBB15_299
.LBB15_547:
	s_mov_b32 s25, 0
	s_mov_b32 s0, s40
.LBB15_548:
                                        ; implicit-def: $vgpr0
.LBB15_549:
	s_and_not1_b32 s26, s40, exec_lo
	s_and_b32 s0, s0, exec_lo
	s_and_not1_b32 s27, s41, exec_lo
	s_and_b32 s24, s24, exec_lo
	s_or_b32 s44, s26, s0
	s_or_b32 s43, s27, s24
	s_or_not1_b32 s0, s25, exec_lo
.LBB15_550:
	s_wait_xcnt 0x0
	s_or_b32 exec_lo, exec_lo, s45
	s_mov_b32 s25, 0
	s_mov_b32 s24, 0
	;; [unrolled: 1-line block ×3, first 2 shown]
                                        ; implicit-def: $vgpr4_vgpr5
                                        ; implicit-def: $vgpr2
                                        ; implicit-def: $vgpr1
	s_and_saveexec_b32 s45, s0
	s_cbranch_execz .LBB15_933
; %bb.551:
	s_mov_b32 s27, -1
	s_mov_b32 s0, s43
	s_mov_b32 s28, s44
	s_mov_b32 s46, exec_lo
	v_cmpx_gt_i32_e64 s37, v0
	s_cbranch_execz .LBB15_830
; %bb.552:
	s_and_not1_b32 vcc_lo, exec_lo, s34
	s_cbranch_vccnz .LBB15_558
; %bb.553:
	s_and_not1_b32 vcc_lo, exec_lo, s39
	s_cbranch_vccnz .LBB15_559
; %bb.554:
	s_add_co_i32 s0, s38, 1
	s_cmp_eq_u32 s31, 2
	s_cbranch_scc1 .LBB15_560
; %bb.555:
	v_dual_mov_b32 v2, 0 :: v_dual_mov_b32 v4, 0
	s_wait_loadcnt 0x0
	v_mov_b32_e32 v1, v0
	s_and_b32 s24, s0, 28
	s_mov_b64 s[26:27], s[2:3]
	s_mov_b64 s[28:29], s[22:23]
.LBB15_556:                             ; =>This Inner Loop Header: Depth=1
	s_clause 0x1
	s_load_b256 s[48:55], s[26:27], 0x4
	s_load_b128 s[64:67], s[26:27], 0x24
	s_load_b256 s[56:63], s[28:29], 0x0
	s_add_co_i32 s25, s25, 4
	s_wait_xcnt 0x0
	s_add_nc_u64 s[26:27], s[26:27], 48
	s_cmp_eq_u32 s24, s25
	s_add_nc_u64 s[28:29], s[28:29], 32
	s_wait_kmcnt 0x0
	v_mul_hi_u32 v3, s49, v1
	s_delay_alu instid0(VALU_DEP_1) | instskip(NEXT) | instid1(VALU_DEP_1)
	v_add_nc_u32_e32 v3, v1, v3
	v_lshrrev_b32_e32 v3, s50, v3
	s_delay_alu instid0(VALU_DEP_1) | instskip(NEXT) | instid1(VALU_DEP_1)
	v_mul_hi_u32 v5, s52, v3
	v_add_nc_u32_e32 v5, v3, v5
	s_delay_alu instid0(VALU_DEP_1) | instskip(NEXT) | instid1(VALU_DEP_1)
	v_lshrrev_b32_e32 v5, s53, v5
	v_mul_hi_u32 v6, s55, v5
	s_delay_alu instid0(VALU_DEP_1) | instskip(SKIP_1) | instid1(VALU_DEP_1)
	v_add_nc_u32_e32 v6, v5, v6
	v_mul_lo_u32 v7, v3, s48
	v_sub_nc_u32_e32 v1, v1, v7
	v_mul_lo_u32 v7, v5, s51
	s_delay_alu instid0(VALU_DEP_4) | instskip(NEXT) | instid1(VALU_DEP_3)
	v_lshrrev_b32_e32 v6, s64, v6
	v_mad_u32 v4, v1, s57, v4
	v_mad_u32 v1, v1, s56, v2
	s_delay_alu instid0(VALU_DEP_4) | instskip(NEXT) | instid1(VALU_DEP_4)
	v_sub_nc_u32_e32 v2, v3, v7
	v_mul_hi_u32 v8, s66, v6
	v_mul_lo_u32 v3, v6, s54
	s_delay_alu instid0(VALU_DEP_3) | instskip(SKIP_1) | instid1(VALU_DEP_3)
	v_mad_u32 v4, v2, s59, v4
	v_mad_u32 v2, v2, s58, v1
	v_dual_add_nc_u32 v7, v6, v8 :: v_dual_sub_nc_u32 v3, v5, v3
	s_delay_alu instid0(VALU_DEP_1) | instskip(NEXT) | instid1(VALU_DEP_2)
	v_lshrrev_b32_e32 v1, s67, v7
	v_mad_u32 v4, v3, s61, v4
	s_delay_alu instid0(VALU_DEP_4) | instskip(NEXT) | instid1(VALU_DEP_3)
	v_mad_u32 v2, v3, s60, v2
	v_mul_lo_u32 v5, v1, s65
	s_delay_alu instid0(VALU_DEP_1) | instskip(NEXT) | instid1(VALU_DEP_1)
	v_sub_nc_u32_e32 v3, v6, v5
	v_mad_u32 v4, v3, s63, v4
	s_delay_alu instid0(VALU_DEP_4)
	v_mad_u32 v2, v3, s62, v2
	s_cbranch_scc0 .LBB15_556
; %bb.557:
	s_delay_alu instid0(VALU_DEP_2)
	v_mov_b32_e32 v3, v4
	s_branch .LBB15_561
.LBB15_558:
	s_mov_b32 s0, -1
                                        ; implicit-def: $vgpr4
                                        ; implicit-def: $vgpr2
	s_branch .LBB15_566
.LBB15_559:
	v_dual_mov_b32 v4, 0 :: v_dual_mov_b32 v2, 0
	s_branch .LBB15_565
.LBB15_560:
	v_mov_b64_e32 v[2:3], 0
	s_wait_loadcnt 0x0
	v_mov_b32_e32 v1, v0
                                        ; implicit-def: $vgpr4
.LBB15_561:
	s_and_b32 s0, s0, 3
	s_mov_b32 s25, 0
	s_cmp_eq_u32 s0, 0
	s_cbranch_scc1 .LBB15_565
; %bb.562:
	s_lshl_b32 s26, s24, 3
	s_mov_b32 s27, s25
	s_mul_u64 s[28:29], s[24:25], 12
	s_add_nc_u64 s[26:27], s[2:3], s[26:27]
	s_delay_alu instid0(SALU_CYCLE_1)
	s_add_nc_u64 s[24:25], s[26:27], 0xc4
	s_add_nc_u64 s[26:27], s[2:3], s[28:29]
.LBB15_563:                             ; =>This Inner Loop Header: Depth=1
	s_load_b96 s[48:50], s[26:27], 0x4
	s_load_b64 s[28:29], s[24:25], 0x0
	s_add_co_i32 s0, s0, -1
	s_wait_xcnt 0x0
	s_add_nc_u64 s[26:27], s[26:27], 12
	s_cmp_lg_u32 s0, 0
	s_add_nc_u64 s[24:25], s[24:25], 8
	s_wait_kmcnt 0x0
	v_mul_hi_u32 v4, s49, v1
	s_delay_alu instid0(VALU_DEP_1) | instskip(NEXT) | instid1(VALU_DEP_1)
	v_add_nc_u32_e32 v4, v1, v4
	v_lshrrev_b32_e32 v4, s50, v4
	s_delay_alu instid0(VALU_DEP_1) | instskip(NEXT) | instid1(VALU_DEP_1)
	v_mul_lo_u32 v5, v4, s48
	v_sub_nc_u32_e32 v1, v1, v5
	s_delay_alu instid0(VALU_DEP_1)
	v_mad_u32 v3, v1, s29, v3
	v_mad_u32 v2, v1, s28, v2
	v_mov_b32_e32 v1, v4
	s_cbranch_scc1 .LBB15_563
; %bb.564:
	s_delay_alu instid0(VALU_DEP_3)
	v_mov_b32_e32 v4, v3
.LBB15_565:
	s_mov_b32 s0, 0
.LBB15_566:
	s_delay_alu instid0(SALU_CYCLE_1)
	s_and_not1_b32 vcc_lo, exec_lo, s0
	s_cbranch_vccnz .LBB15_569
; %bb.567:
	s_wait_loadcnt 0x0
	v_mov_b32_e32 v1, 0
	s_and_not1_b32 vcc_lo, exec_lo, s36
	s_delay_alu instid0(VALU_DEP_1) | instskip(NEXT) | instid1(VALU_DEP_1)
	v_mul_u64_e32 v[2:3], s[18:19], v[0:1]
	v_add_nc_u32_e32 v2, v0, v3
	s_delay_alu instid0(VALU_DEP_1) | instskip(NEXT) | instid1(VALU_DEP_1)
	v_lshrrev_b32_e32 v6, s10, v2
	v_mul_lo_u32 v2, v6, s8
	s_delay_alu instid0(VALU_DEP_1) | instskip(NEXT) | instid1(VALU_DEP_1)
	v_sub_nc_u32_e32 v2, v0, v2
	v_mul_lo_u32 v4, v2, s13
	v_mul_lo_u32 v2, v2, s12
	s_cbranch_vccnz .LBB15_569
; %bb.568:
	v_mov_b32_e32 v7, v1
	s_delay_alu instid0(VALU_DEP_1) | instskip(NEXT) | instid1(VALU_DEP_1)
	v_mul_u64_e32 v[8:9], s[20:21], v[6:7]
	v_add_nc_u32_e32 v1, v6, v9
	s_delay_alu instid0(VALU_DEP_1) | instskip(NEXT) | instid1(VALU_DEP_1)
	v_lshrrev_b32_e32 v1, s1, v1
	v_mul_lo_u32 v1, v1, s11
	s_delay_alu instid0(VALU_DEP_1) | instskip(NEXT) | instid1(VALU_DEP_1)
	v_sub_nc_u32_e32 v1, v6, v1
	v_mad_u32 v2, v1, s14, v2
	v_mad_u32 v4, v1, s15, v4
.LBB15_569:
	v_mov_b32_e32 v5, 0
	s_and_b32 s0, 0xffff, s9
	s_delay_alu instid0(SALU_CYCLE_1) | instskip(NEXT) | instid1(VALU_DEP_1)
	s_cmp_lt_i32 s0, 11
	v_add_nc_u64_e32 v[4:5], s[6:7], v[4:5]
	s_cbranch_scc1 .LBB15_576
; %bb.570:
	s_cmp_gt_i32 s0, 25
	s_cbranch_scc0 .LBB15_577
; %bb.571:
	s_cmp_gt_i32 s0, 28
	s_cbranch_scc0 .LBB15_578
	;; [unrolled: 3-line block ×4, first 2 shown]
; %bb.574:
	s_cmp_eq_u32 s0, 46
	s_mov_b32 s26, 0
	s_cbranch_scc0 .LBB15_585
; %bb.575:
	s_wait_loadcnt 0x0
	global_load_b32 v1, v[4:5], off
	s_mov_b32 s25, -1
	s_mov_b32 s24, 0
	s_wait_loadcnt 0x0
	v_lshlrev_b32_e32 v1, 16, v1
	s_branch .LBB15_587
.LBB15_576:
	s_mov_b32 s26, -1
	s_mov_b32 s25, 0
	s_mov_b32 s24, s43
                                        ; implicit-def: $vgpr1
	s_branch .LBB15_652
.LBB15_577:
	s_mov_b32 s26, -1
	s_mov_b32 s25, 0
	s_mov_b32 s24, s43
                                        ; implicit-def: $vgpr1
	s_branch .LBB15_616
.LBB15_578:
	s_mov_b32 s26, -1
	s_mov_b32 s25, 0
	s_mov_b32 s24, s43
                                        ; implicit-def: $vgpr1
	s_branch .LBB15_597
.LBB15_579:
	s_mov_b32 s26, -1
	s_mov_b32 s25, 0
	s_mov_b32 s24, s43
                                        ; implicit-def: $vgpr1
	s_branch .LBB15_592
.LBB15_580:
	s_and_not1_saveexec_b32 s29, s29
	s_cbranch_execz .LBB15_347
.LBB15_581:
	v_add_f32_e64 v1, 0x46000000, |v4|
	s_and_not1_b32 s28, s28, exec_lo
	s_delay_alu instid0(VALU_DEP_1) | instskip(NEXT) | instid1(VALU_DEP_1)
	v_and_b32_e32 v1, 0xff, v1
	v_cmp_ne_u32_e32 vcc_lo, 0, v1
	s_and_b32 s43, vcc_lo, exec_lo
	s_delay_alu instid0(SALU_CYCLE_1)
	s_or_b32 s28, s28, s43
	s_or_b32 exec_lo, exec_lo, s29
	v_mov_b32_e32 v5, 0
	s_and_saveexec_b32 s29, s28
	s_cbranch_execnz .LBB15_348
	s_branch .LBB15_349
.LBB15_582:
	s_mov_b32 s26, -1
	s_mov_b32 s25, 0
	s_mov_b32 s24, s43
	s_branch .LBB15_586
.LBB15_583:
	s_and_not1_saveexec_b32 s29, s29
	s_cbranch_execz .LBB15_360
.LBB15_584:
	v_add_f32_e64 v1, 0x42800000, |v4|
	s_and_not1_b32 s28, s28, exec_lo
	s_delay_alu instid0(VALU_DEP_1) | instskip(NEXT) | instid1(VALU_DEP_1)
	v_and_b32_e32 v1, 0xff, v1
	v_cmp_ne_u32_e32 vcc_lo, 0, v1
	s_and_b32 s43, vcc_lo, exec_lo
	s_delay_alu instid0(SALU_CYCLE_1)
	s_or_b32 s28, s28, s43
	s_or_b32 exec_lo, exec_lo, s29
	v_mov_b32_e32 v5, 0
	s_and_saveexec_b32 s29, s28
	s_cbranch_execnz .LBB15_361
	s_branch .LBB15_362
.LBB15_585:
	s_mov_b32 s24, -1
	s_mov_b32 s25, 0
.LBB15_586:
                                        ; implicit-def: $vgpr1
.LBB15_587:
	s_and_b32 vcc_lo, exec_lo, s26
	s_cbranch_vccz .LBB15_591
; %bb.588:
	s_cmp_eq_u32 s0, 44
	s_cbranch_scc0 .LBB15_590
; %bb.589:
	s_wait_loadcnt 0x0
	global_load_u8 v1, v[4:5], off
	s_mov_b32 s24, 0
	s_mov_b32 s25, -1
	s_wait_loadcnt 0x0
	v_lshlrev_b32_e32 v3, 23, v1
	v_cmp_ne_u32_e32 vcc_lo, 0xff, v1
	s_delay_alu instid0(VALU_DEP_2) | instskip(SKIP_1) | instid1(VALU_DEP_2)
	v_cndmask_b32_e32 v3, 0x7f800001, v3, vcc_lo
	v_cmp_ne_u32_e32 vcc_lo, 0, v1
	v_cndmask_b32_e32 v1, 0x400000, v3, vcc_lo
	s_branch .LBB15_591
.LBB15_590:
	s_mov_b32 s24, -1
                                        ; implicit-def: $vgpr1
.LBB15_591:
	s_mov_b32 s26, 0
.LBB15_592:
	s_delay_alu instid0(SALU_CYCLE_1)
	s_and_b32 vcc_lo, exec_lo, s26
	s_cbranch_vccz .LBB15_596
; %bb.593:
	s_cmp_eq_u32 s0, 29
	s_cbranch_scc0 .LBB15_595
; %bb.594:
	global_load_b64 v[6:7], v[4:5], off
	s_mov_b32 s25, -1
	s_mov_b32 s24, 0
	s_mov_b32 s26, 0
	s_wait_loadcnt 0x0
	v_clz_i32_u32_e32 v1, v7
	s_delay_alu instid0(VALU_DEP_1) | instskip(NEXT) | instid1(VALU_DEP_1)
	v_min_u32_e32 v1, 32, v1
	v_lshlrev_b64_e32 v[6:7], v1, v[6:7]
	v_sub_nc_u32_e32 v1, 32, v1
	s_delay_alu instid0(VALU_DEP_2) | instskip(NEXT) | instid1(VALU_DEP_1)
	v_min_u32_e32 v3, 1, v6
	v_or_b32_e32 v3, v7, v3
	s_delay_alu instid0(VALU_DEP_1) | instskip(NEXT) | instid1(VALU_DEP_1)
	v_cvt_f32_u32_e32 v3, v3
	v_ldexp_f32 v1, v3, v1
	s_branch .LBB15_597
.LBB15_595:
	s_mov_b32 s24, -1
                                        ; implicit-def: $vgpr1
.LBB15_596:
	s_mov_b32 s26, 0
.LBB15_597:
	s_delay_alu instid0(SALU_CYCLE_1)
	s_and_b32 vcc_lo, exec_lo, s26
	s_cbranch_vccz .LBB15_615
; %bb.598:
	s_cmp_lt_i32 s0, 27
	s_cbranch_scc1 .LBB15_601
; %bb.599:
	s_cmp_gt_i32 s0, 27
	s_cbranch_scc0 .LBB15_602
; %bb.600:
	s_wait_loadcnt 0x0
	global_load_b32 v1, v[4:5], off
	s_mov_b32 s25, 0
	s_wait_loadcnt 0x0
	v_cvt_f32_u32_e32 v1, v1
	s_branch .LBB15_603
.LBB15_601:
	s_mov_b32 s25, -1
                                        ; implicit-def: $vgpr1
	s_branch .LBB15_606
.LBB15_602:
	s_mov_b32 s25, -1
                                        ; implicit-def: $vgpr1
.LBB15_603:
	s_delay_alu instid0(SALU_CYCLE_1)
	s_and_not1_b32 vcc_lo, exec_lo, s25
	s_cbranch_vccnz .LBB15_605
; %bb.604:
	s_wait_loadcnt 0x0
	global_load_u16 v1, v[4:5], off
	s_wait_loadcnt 0x0
	v_cvt_f32_u32_e32 v1, v1
.LBB15_605:
	s_mov_b32 s25, 0
.LBB15_606:
	s_delay_alu instid0(SALU_CYCLE_1)
	s_and_not1_b32 vcc_lo, exec_lo, s25
	s_cbranch_vccnz .LBB15_614
; %bb.607:
	global_load_u8 v3, v[4:5], off
	s_mov_b32 s25, 0
	s_mov_b32 s26, exec_lo
	s_wait_loadcnt 0x0
	v_cmpx_lt_i16_e32 0x7f, v3
	s_xor_b32 s26, exec_lo, s26
	s_cbranch_execz .LBB15_628
; %bb.608:
	s_mov_b32 s25, -1
	s_mov_b32 s27, exec_lo
	v_cmpx_eq_u16_e32 0x80, v3
; %bb.609:
	s_xor_b32 s25, exec_lo, -1
; %bb.610:
	s_or_b32 exec_lo, exec_lo, s27
	s_delay_alu instid0(SALU_CYCLE_1)
	s_and_b32 s25, s25, exec_lo
	s_or_saveexec_b32 s26, s26
	v_mov_b32_e32 v1, 0x7f800001
	s_xor_b32 exec_lo, exec_lo, s26
	s_cbranch_execnz .LBB15_629
.LBB15_611:
	s_or_b32 exec_lo, exec_lo, s26
	s_and_saveexec_b32 s26, s25
	s_cbranch_execz .LBB15_613
.LBB15_612:
	v_and_b32_e32 v1, 0xffff, v3
	s_delay_alu instid0(VALU_DEP_1) | instskip(SKIP_1) | instid1(VALU_DEP_2)
	v_and_b32_e32 v6, 7, v1
	v_bfe_u32 v9, v1, 3, 4
	v_clz_i32_u32_e32 v7, v6
	s_delay_alu instid0(VALU_DEP_2) | instskip(NEXT) | instid1(VALU_DEP_2)
	v_cmp_eq_u32_e32 vcc_lo, 0, v9
	v_min_u32_e32 v7, 32, v7
	s_delay_alu instid0(VALU_DEP_1) | instskip(NEXT) | instid1(VALU_DEP_1)
	v_subrev_nc_u32_e32 v8, 28, v7
	v_dual_lshlrev_b32 v1, v8, v1 :: v_dual_sub_nc_u32 v7, 29, v7
	s_delay_alu instid0(VALU_DEP_1) | instskip(NEXT) | instid1(VALU_DEP_1)
	v_dual_lshlrev_b32 v3, 24, v3 :: v_dual_bitop2_b32 v1, 7, v1 bitop3:0x40
	v_dual_cndmask_b32 v1, v6, v1, vcc_lo :: v_dual_cndmask_b32 v7, v9, v7, vcc_lo
	s_delay_alu instid0(VALU_DEP_2) | instskip(NEXT) | instid1(VALU_DEP_2)
	v_and_b32_e32 v3, 0x80000000, v3
	v_lshlrev_b32_e32 v1, 20, v1
	s_delay_alu instid0(VALU_DEP_3) | instskip(NEXT) | instid1(VALU_DEP_1)
	v_lshl_add_u32 v6, v7, 23, 0x3b800000
	v_or3_b32 v1, v3, v6, v1
.LBB15_613:
	s_or_b32 exec_lo, exec_lo, s26
.LBB15_614:
	s_mov_b32 s25, -1
.LBB15_615:
	s_mov_b32 s26, 0
.LBB15_616:
	s_delay_alu instid0(SALU_CYCLE_1)
	s_and_b32 vcc_lo, exec_lo, s26
	s_cbranch_vccz .LBB15_651
; %bb.617:
	s_cmp_gt_i32 s0, 22
	s_cbranch_scc0 .LBB15_627
; %bb.618:
	s_cmp_lt_i32 s0, 24
	s_cbranch_scc1 .LBB15_630
; %bb.619:
	s_cmp_gt_i32 s0, 24
	s_cbranch_scc0 .LBB15_631
; %bb.620:
	global_load_u8 v3, v[4:5], off
	s_mov_b32 s25, 0
	s_mov_b32 s26, exec_lo
	s_wait_loadcnt 0x0
	v_cmpx_lt_i16_e32 0x7f, v3
	s_xor_b32 s26, exec_lo, s26
	s_cbranch_execz .LBB15_643
; %bb.621:
	s_mov_b32 s25, -1
	s_mov_b32 s27, exec_lo
	v_cmpx_eq_u16_e32 0x80, v3
; %bb.622:
	s_xor_b32 s25, exec_lo, -1
; %bb.623:
	s_or_b32 exec_lo, exec_lo, s27
	s_delay_alu instid0(SALU_CYCLE_1)
	s_and_b32 s25, s25, exec_lo
	s_or_saveexec_b32 s26, s26
	v_mov_b32_e32 v1, 0x7f800001
	s_xor_b32 exec_lo, exec_lo, s26
	s_cbranch_execnz .LBB15_644
.LBB15_624:
	s_or_b32 exec_lo, exec_lo, s26
	s_and_saveexec_b32 s26, s25
	s_cbranch_execz .LBB15_626
.LBB15_625:
	v_and_b32_e32 v1, 0xffff, v3
	s_delay_alu instid0(VALU_DEP_1) | instskip(SKIP_1) | instid1(VALU_DEP_2)
	v_and_b32_e32 v6, 3, v1
	v_bfe_u32 v9, v1, 2, 5
	v_clz_i32_u32_e32 v7, v6
	s_delay_alu instid0(VALU_DEP_2) | instskip(NEXT) | instid1(VALU_DEP_2)
	v_cmp_eq_u32_e32 vcc_lo, 0, v9
	v_min_u32_e32 v7, 32, v7
	s_delay_alu instid0(VALU_DEP_1) | instskip(NEXT) | instid1(VALU_DEP_1)
	v_subrev_nc_u32_e32 v8, 29, v7
	v_dual_lshlrev_b32 v1, v8, v1 :: v_dual_sub_nc_u32 v7, 30, v7
	s_delay_alu instid0(VALU_DEP_1) | instskip(NEXT) | instid1(VALU_DEP_1)
	v_dual_lshlrev_b32 v3, 24, v3 :: v_dual_bitop2_b32 v1, 3, v1 bitop3:0x40
	v_dual_cndmask_b32 v1, v6, v1, vcc_lo :: v_dual_cndmask_b32 v7, v9, v7, vcc_lo
	s_delay_alu instid0(VALU_DEP_2) | instskip(NEXT) | instid1(VALU_DEP_2)
	v_and_b32_e32 v3, 0x80000000, v3
	v_lshlrev_b32_e32 v1, 21, v1
	s_delay_alu instid0(VALU_DEP_3) | instskip(NEXT) | instid1(VALU_DEP_1)
	v_lshl_add_u32 v6, v7, 23, 0x37800000
	v_or3_b32 v1, v3, v6, v1
.LBB15_626:
	s_or_b32 exec_lo, exec_lo, s26
	s_mov_b32 s25, 0
	s_branch .LBB15_632
.LBB15_627:
	s_mov_b32 s26, -1
                                        ; implicit-def: $vgpr1
	s_branch .LBB15_638
.LBB15_628:
	s_or_saveexec_b32 s26, s26
	v_mov_b32_e32 v1, 0x7f800001
	s_xor_b32 exec_lo, exec_lo, s26
	s_cbranch_execz .LBB15_611
.LBB15_629:
	v_cmp_ne_u16_e32 vcc_lo, 0, v3
	v_mov_b32_e32 v1, 0
	s_and_not1_b32 s25, s25, exec_lo
	s_and_b32 s27, vcc_lo, exec_lo
	s_delay_alu instid0(SALU_CYCLE_1)
	s_or_b32 s25, s25, s27
	s_or_b32 exec_lo, exec_lo, s26
	s_and_saveexec_b32 s26, s25
	s_cbranch_execnz .LBB15_612
	s_branch .LBB15_613
.LBB15_630:
	s_mov_b32 s25, -1
                                        ; implicit-def: $vgpr1
	s_branch .LBB15_635
.LBB15_631:
	s_mov_b32 s25, -1
                                        ; implicit-def: $vgpr1
.LBB15_632:
	s_delay_alu instid0(SALU_CYCLE_1)
	s_and_b32 vcc_lo, exec_lo, s25
	s_cbranch_vccz .LBB15_634
; %bb.633:
	s_wait_loadcnt 0x0
	global_load_u8 v1, v[4:5], off
	s_wait_loadcnt 0x0
	v_lshlrev_b32_e32 v1, 24, v1
	s_delay_alu instid0(VALU_DEP_1) | instskip(NEXT) | instid1(VALU_DEP_1)
	v_and_b32_e32 v3, 0x7f000000, v1
	v_clz_i32_u32_e32 v6, v3
	v_cmp_ne_u32_e32 vcc_lo, 0, v3
	v_add_nc_u32_e32 v8, 0x1000000, v3
	s_delay_alu instid0(VALU_DEP_3) | instskip(NEXT) | instid1(VALU_DEP_1)
	v_min_u32_e32 v6, 32, v6
	v_sub_nc_u32_e64 v6, v6, 4 clamp
	s_delay_alu instid0(VALU_DEP_1) | instskip(NEXT) | instid1(VALU_DEP_1)
	v_dual_lshlrev_b32 v7, v6, v3 :: v_dual_lshlrev_b32 v6, 23, v6
	v_lshrrev_b32_e32 v7, 4, v7
	s_delay_alu instid0(VALU_DEP_1) | instskip(NEXT) | instid1(VALU_DEP_1)
	v_dual_sub_nc_u32 v6, v7, v6 :: v_dual_ashrrev_i32 v7, 8, v8
	v_add_nc_u32_e32 v6, 0x3c000000, v6
	s_delay_alu instid0(VALU_DEP_1) | instskip(NEXT) | instid1(VALU_DEP_1)
	v_and_or_b32 v6, 0x7f800000, v7, v6
	v_cndmask_b32_e32 v3, 0, v6, vcc_lo
	s_delay_alu instid0(VALU_DEP_1)
	v_and_or_b32 v1, 0x80000000, v1, v3
.LBB15_634:
	s_mov_b32 s25, 0
.LBB15_635:
	s_delay_alu instid0(SALU_CYCLE_1)
	s_and_not1_b32 vcc_lo, exec_lo, s25
	s_cbranch_vccnz .LBB15_637
; %bb.636:
	s_wait_loadcnt 0x0
	global_load_u8 v1, v[4:5], off
	s_wait_loadcnt 0x0
	v_lshlrev_b32_e32 v3, 25, v1
	v_lshlrev_b16 v1, 8, v1
	s_delay_alu instid0(VALU_DEP_1) | instskip(SKIP_1) | instid1(VALU_DEP_2)
	v_and_or_b32 v7, 0x7f00, v1, 0.5
	v_bfe_i32 v1, v1, 0, 16
	v_add_f32_e32 v7, -0.5, v7
	v_lshrrev_b32_e32 v6, 4, v3
	v_cmp_gt_u32_e32 vcc_lo, 0x8000000, v3
	s_delay_alu instid0(VALU_DEP_2) | instskip(NEXT) | instid1(VALU_DEP_1)
	v_or_b32_e32 v6, 0x70000000, v6
	v_mul_f32_e32 v6, 0x7800000, v6
	s_delay_alu instid0(VALU_DEP_1) | instskip(NEXT) | instid1(VALU_DEP_1)
	v_cndmask_b32_e32 v3, v6, v7, vcc_lo
	v_and_or_b32 v1, 0x80000000, v1, v3
.LBB15_637:
	s_mov_b32 s26, 0
	s_mov_b32 s25, -1
.LBB15_638:
	s_and_not1_b32 vcc_lo, exec_lo, s26
	s_cbranch_vccnz .LBB15_651
; %bb.639:
	s_cmp_gt_i32 s0, 14
	s_cbranch_scc0 .LBB15_642
; %bb.640:
	s_cmp_eq_u32 s0, 15
	s_cbranch_scc0 .LBB15_645
; %bb.641:
	s_wait_loadcnt 0x0
	global_load_u16 v1, v[4:5], off
	s_mov_b32 s25, -1
	s_mov_b32 s24, 0
	s_wait_loadcnt 0x0
	v_lshlrev_b32_e32 v1, 16, v1
	s_branch .LBB15_646
.LBB15_642:
	s_mov_b32 s26, -1
                                        ; implicit-def: $vgpr1
	s_branch .LBB15_647
.LBB15_643:
	s_or_saveexec_b32 s26, s26
	v_mov_b32_e32 v1, 0x7f800001
	s_xor_b32 exec_lo, exec_lo, s26
	s_cbranch_execz .LBB15_624
.LBB15_644:
	v_cmp_ne_u16_e32 vcc_lo, 0, v3
	v_mov_b32_e32 v1, 0
	s_and_not1_b32 s25, s25, exec_lo
	s_and_b32 s27, vcc_lo, exec_lo
	s_delay_alu instid0(SALU_CYCLE_1)
	s_or_b32 s25, s25, s27
	s_or_b32 exec_lo, exec_lo, s26
	s_and_saveexec_b32 s26, s25
	s_cbranch_execnz .LBB15_625
	s_branch .LBB15_626
.LBB15_645:
	s_mov_b32 s24, -1
                                        ; implicit-def: $vgpr1
.LBB15_646:
	s_mov_b32 s26, 0
.LBB15_647:
	s_delay_alu instid0(SALU_CYCLE_1)
	s_and_b32 vcc_lo, exec_lo, s26
	s_cbranch_vccz .LBB15_651
; %bb.648:
	s_cmp_eq_u32 s0, 11
	s_cbranch_scc0 .LBB15_650
; %bb.649:
	s_wait_loadcnt 0x0
	global_load_u8 v1, v[4:5], off
	s_mov_b32 s24, 0
	s_mov_b32 s25, -1
	s_wait_loadcnt 0x0
	v_cmp_ne_u16_e32 vcc_lo, 0, v1
	v_cndmask_b32_e64 v1, 0, 1.0, vcc_lo
	s_branch .LBB15_651
.LBB15_650:
	s_mov_b32 s24, -1
                                        ; implicit-def: $vgpr1
.LBB15_651:
	s_mov_b32 s26, 0
.LBB15_652:
	s_delay_alu instid0(SALU_CYCLE_1)
	s_and_b32 vcc_lo, exec_lo, s26
	s_cbranch_vccz .LBB15_701
; %bb.653:
	s_cmp_lt_i32 s0, 5
	s_cbranch_scc1 .LBB15_658
; %bb.654:
	s_cmp_lt_i32 s0, 8
	s_cbranch_scc1 .LBB15_659
	;; [unrolled: 3-line block ×3, first 2 shown]
; %bb.656:
	s_cmp_gt_i32 s0, 9
	s_cbranch_scc0 .LBB15_661
; %bb.657:
	global_load_b64 v[6:7], v[4:5], off
	s_mov_b32 s25, 0
	s_wait_loadcnt 0x0
	v_cvt_f32_f64_e32 v1, v[6:7]
	s_branch .LBB15_662
.LBB15_658:
	s_mov_b32 s25, -1
                                        ; implicit-def: $vgpr1
	s_branch .LBB15_680
.LBB15_659:
	s_mov_b32 s25, -1
                                        ; implicit-def: $vgpr1
	s_branch .LBB15_668
.LBB15_660:
	s_mov_b32 s25, -1
                                        ; implicit-def: $vgpr1
	s_branch .LBB15_665
.LBB15_661:
	s_mov_b32 s25, -1
                                        ; implicit-def: $vgpr1
.LBB15_662:
	s_delay_alu instid0(SALU_CYCLE_1)
	s_and_not1_b32 vcc_lo, exec_lo, s25
	s_cbranch_vccnz .LBB15_664
; %bb.663:
	s_wait_loadcnt 0x0
	global_load_b32 v1, v[4:5], off
.LBB15_664:
	s_mov_b32 s25, 0
.LBB15_665:
	s_delay_alu instid0(SALU_CYCLE_1)
	s_and_not1_b32 vcc_lo, exec_lo, s25
	s_cbranch_vccnz .LBB15_667
; %bb.666:
	s_wait_loadcnt 0x0
	global_load_b32 v1, v[4:5], off
	s_wait_loadcnt 0x0
	v_cvt_f32_f16_e32 v1, v1
.LBB15_667:
	s_mov_b32 s25, 0
.LBB15_668:
	s_delay_alu instid0(SALU_CYCLE_1)
	s_and_not1_b32 vcc_lo, exec_lo, s25
	s_cbranch_vccnz .LBB15_679
; %bb.669:
	s_cmp_lt_i32 s0, 6
	s_cbranch_scc1 .LBB15_672
; %bb.670:
	s_cmp_gt_i32 s0, 6
	s_cbranch_scc0 .LBB15_673
; %bb.671:
	global_load_b64 v[6:7], v[4:5], off
	s_mov_b32 s25, 0
	s_wait_loadcnt 0x0
	v_cvt_f32_f64_e32 v1, v[6:7]
	s_branch .LBB15_674
.LBB15_672:
	s_mov_b32 s25, -1
                                        ; implicit-def: $vgpr1
	s_branch .LBB15_677
.LBB15_673:
	s_mov_b32 s25, -1
                                        ; implicit-def: $vgpr1
.LBB15_674:
	s_delay_alu instid0(SALU_CYCLE_1)
	s_and_not1_b32 vcc_lo, exec_lo, s25
	s_cbranch_vccnz .LBB15_676
; %bb.675:
	s_wait_loadcnt 0x0
	global_load_b32 v1, v[4:5], off
.LBB15_676:
	s_mov_b32 s25, 0
.LBB15_677:
	s_delay_alu instid0(SALU_CYCLE_1)
	s_and_not1_b32 vcc_lo, exec_lo, s25
	s_cbranch_vccnz .LBB15_679
; %bb.678:
	s_wait_loadcnt 0x0
	global_load_u16 v1, v[4:5], off
	s_wait_loadcnt 0x0
	v_cvt_f32_f16_e32 v1, v1
.LBB15_679:
	s_mov_b32 s25, 0
.LBB15_680:
	s_delay_alu instid0(SALU_CYCLE_1)
	s_and_not1_b32 vcc_lo, exec_lo, s25
	s_cbranch_vccnz .LBB15_700
; %bb.681:
	s_cmp_lt_i32 s0, 2
	s_cbranch_scc1 .LBB15_685
; %bb.682:
	s_cmp_lt_i32 s0, 3
	s_cbranch_scc1 .LBB15_686
; %bb.683:
	s_cmp_gt_i32 s0, 3
	s_cbranch_scc0 .LBB15_687
; %bb.684:
	global_load_b64 v[6:7], v[4:5], off
	s_mov_b32 s25, 0
	s_wait_loadcnt 0x0
	v_xor_b32_e32 v1, v6, v7
	v_cls_i32_e32 v3, v7
	s_delay_alu instid0(VALU_DEP_2) | instskip(NEXT) | instid1(VALU_DEP_1)
	v_ashrrev_i32_e32 v1, 31, v1
	v_add_nc_u32_e32 v1, 32, v1
	s_delay_alu instid0(VALU_DEP_1) | instskip(NEXT) | instid1(VALU_DEP_1)
	v_add_min_u32_e64 v1, v3, -1, v1
	v_lshlrev_b64_e32 v[6:7], v1, v[6:7]
	v_sub_nc_u32_e32 v1, 32, v1
	s_delay_alu instid0(VALU_DEP_2) | instskip(NEXT) | instid1(VALU_DEP_1)
	v_min_u32_e32 v3, 1, v6
	v_or_b32_e32 v3, v7, v3
	s_delay_alu instid0(VALU_DEP_1) | instskip(NEXT) | instid1(VALU_DEP_1)
	v_cvt_f32_i32_e32 v3, v3
	v_ldexp_f32 v1, v3, v1
	s_branch .LBB15_688
.LBB15_685:
	s_mov_b32 s25, -1
                                        ; implicit-def: $vgpr1
	s_branch .LBB15_694
.LBB15_686:
	s_mov_b32 s25, -1
                                        ; implicit-def: $vgpr1
	s_branch .LBB15_691
.LBB15_687:
	s_mov_b32 s25, -1
                                        ; implicit-def: $vgpr1
.LBB15_688:
	s_delay_alu instid0(SALU_CYCLE_1)
	s_and_not1_b32 vcc_lo, exec_lo, s25
	s_cbranch_vccnz .LBB15_690
; %bb.689:
	s_wait_loadcnt 0x0
	global_load_b32 v1, v[4:5], off
	s_wait_loadcnt 0x0
	v_cvt_f32_i32_e32 v1, v1
.LBB15_690:
	s_mov_b32 s25, 0
.LBB15_691:
	s_delay_alu instid0(SALU_CYCLE_1)
	s_and_not1_b32 vcc_lo, exec_lo, s25
	s_cbranch_vccnz .LBB15_693
; %bb.692:
	s_wait_loadcnt 0x0
	global_load_i16 v1, v[4:5], off
	s_wait_loadcnt 0x0
	v_cvt_f32_i32_e32 v1, v1
.LBB15_693:
	s_mov_b32 s25, 0
.LBB15_694:
	s_delay_alu instid0(SALU_CYCLE_1)
	s_and_not1_b32 vcc_lo, exec_lo, s25
	s_cbranch_vccnz .LBB15_700
; %bb.695:
	s_cmp_gt_i32 s0, 0
	s_mov_b32 s0, 0
	s_cbranch_scc0 .LBB15_697
; %bb.696:
	s_wait_loadcnt 0x0
	global_load_i8 v1, v[4:5], off
	s_wait_loadcnt 0x0
	v_cvt_f32_i32_e32 v1, v1
	s_branch .LBB15_698
.LBB15_697:
	s_mov_b32 s0, -1
                                        ; implicit-def: $vgpr1
.LBB15_698:
	s_delay_alu instid0(SALU_CYCLE_1)
	s_and_not1_b32 vcc_lo, exec_lo, s0
	s_cbranch_vccnz .LBB15_700
; %bb.699:
	s_wait_loadcnt 0x0
	global_load_u8 v1, v[4:5], off
	s_wait_loadcnt 0x0
	v_cvt_f32_ubyte0_e32 v1, v1
.LBB15_700:
	s_mov_b32 s25, -1
.LBB15_701:
	s_delay_alu instid0(SALU_CYCLE_1)
	s_and_not1_b32 vcc_lo, exec_lo, s25
	s_cbranch_vccnz .LBB15_711
; %bb.702:
	s_wait_xcnt 0x0
	v_mov_b32_e32 v4, 1.0
	s_mov_b32 s0, exec_lo
	s_wait_loadcnt 0x0
	s_delay_alu instid0(VALU_DEP_2)
	v_cmpx_lt_f32_e32 s16, v1
	s_cbranch_execz .LBB15_704
; %bb.703:
	v_add_f32_e32 v1, 0x33d6bf95, v1
	s_delay_alu instid0(VALU_DEP_1) | instskip(NEXT) | instid1(VALU_DEP_1)
	v_div_scale_f32 v3, null, v1, v1, s16
	v_rcp_f32_e32 v4, v3
	v_nop
	s_delay_alu instid0(TRANS32_DEP_1) | instskip(NEXT) | instid1(VALU_DEP_1)
	v_fma_f32 v5, -v3, v4, 1.0
	v_fmac_f32_e32 v4, v5, v4
	v_div_scale_f32 v5, vcc_lo, s16, v1, s16
	s_delay_alu instid0(VALU_DEP_1) | instskip(NEXT) | instid1(VALU_DEP_1)
	v_mul_f32_e32 v6, v5, v4
	v_fma_f32 v7, -v3, v6, v5
	s_delay_alu instid0(VALU_DEP_1) | instskip(NEXT) | instid1(VALU_DEP_1)
	v_fmac_f32_e32 v6, v7, v4
	v_fma_f32 v3, -v3, v6, v5
	s_delay_alu instid0(VALU_DEP_1) | instskip(NEXT) | instid1(VALU_DEP_1)
	v_div_fmas_f32 v3, v3, v4, v6
	v_div_fixup_f32 v4, v3, v1, s16
.LBB15_704:
	s_or_b32 exec_lo, exec_lo, s0
	v_mov_b32_e32 v3, 0
	s_and_b32 s25, s17, 0xff
	s_delay_alu instid0(SALU_CYCLE_1) | instskip(NEXT) | instid1(VALU_DEP_1)
	s_cmp_lt_i32 s25, 11
	v_add_nc_u64_e32 v[2:3], s[4:5], v[2:3]
	s_cbranch_scc1 .LBB15_712
; %bb.705:
	s_and_b32 s26, 0xffff, s25
	s_delay_alu instid0(SALU_CYCLE_1)
	s_cmp_gt_i32 s26, 25
	s_cbranch_scc0 .LBB15_713
; %bb.706:
	s_cmp_gt_i32 s26, 28
	s_cbranch_scc0 .LBB15_714
; %bb.707:
	;; [unrolled: 3-line block ×4, first 2 shown]
	s_mov_b32 s28, 0
	s_mov_b32 s0, -1
	s_cmp_eq_u32 s26, 46
	s_mov_b32 s27, 0
	s_cbranch_scc0 .LBB15_717
; %bb.710:
	v_bfe_u32 v1, v4, 16, 1
	v_cmp_o_f32_e32 vcc_lo, v4, v4
	s_mov_b32 s27, -1
	s_mov_b32 s0, 0
	s_delay_alu instid0(VALU_DEP_2) | instskip(NEXT) | instid1(VALU_DEP_1)
	v_add3_u32 v1, v4, v1, 0x7fff
	v_lshrrev_b32_e32 v1, 16, v1
	s_delay_alu instid0(VALU_DEP_1)
	v_cndmask_b32_e32 v1, 0x7fc0, v1, vcc_lo
	global_store_b32 v[2:3], v1, off
	s_branch .LBB15_717
.LBB15_711:
	s_mov_b32 s25, 0
	s_mov_b32 s0, s44
	s_branch .LBB15_828
.LBB15_712:
	s_mov_b32 s26, -1
	s_mov_b32 s27, 0
	s_mov_b32 s0, s44
	s_branch .LBB15_786
.LBB15_713:
	s_mov_b32 s28, -1
	s_mov_b32 s27, 0
	s_mov_b32 s0, s44
	s_branch .LBB15_744
.LBB15_714:
	s_mov_b32 s28, -1
	s_mov_b32 s27, 0
	s_mov_b32 s0, s44
	s_branch .LBB15_727
.LBB15_715:
	s_mov_b32 s28, -1
	s_mov_b32 s27, 0
	s_mov_b32 s0, s44
	s_branch .LBB15_723
.LBB15_716:
	s_mov_b32 s28, -1
	s_mov_b32 s27, 0
	s_mov_b32 s0, s44
.LBB15_717:
	s_and_b32 vcc_lo, exec_lo, s28
	s_cbranch_vccz .LBB15_722
; %bb.718:
	s_cmp_eq_u32 s26, 44
	s_mov_b32 s0, -1
	s_cbranch_scc0 .LBB15_722
; %bb.719:
	v_bfe_u32 v5, v4, 23, 8
	s_wait_xcnt 0x0
	v_mov_b32_e32 v1, 0xff
	s_mov_b32 s27, exec_lo
	s_delay_alu instid0(VALU_DEP_2)
	v_cmpx_ne_u32_e32 0xff, v5
	s_cbranch_execz .LBB15_721
; %bb.720:
	v_and_b32_e32 v1, 0x400000, v4
	v_and_or_b32 v5, 0x3fffff, v4, v5
	s_delay_alu instid0(VALU_DEP_2) | instskip(NEXT) | instid1(VALU_DEP_2)
	v_cmp_ne_u32_e32 vcc_lo, 0, v1
	v_cmp_ne_u32_e64 s0, 0, v5
	v_lshrrev_b32_e32 v1, 23, v4
	s_and_b32 s0, vcc_lo, s0
	s_delay_alu instid0(SALU_CYCLE_1) | instskip(NEXT) | instid1(VALU_DEP_1)
	v_cndmask_b32_e64 v5, 0, 1, s0
	v_add_nc_u32_e32 v1, v1, v5
.LBB15_721:
	s_or_b32 exec_lo, exec_lo, s27
	s_mov_b32 s27, -1
	s_mov_b32 s0, 0
	global_store_b8 v[2:3], v1, off
.LBB15_722:
	s_mov_b32 s28, 0
.LBB15_723:
	s_delay_alu instid0(SALU_CYCLE_1)
	s_and_b32 vcc_lo, exec_lo, s28
	s_cbranch_vccz .LBB15_726
; %bb.724:
	s_cmp_eq_u32 s26, 29
	s_mov_b32 s0, -1
	s_cbranch_scc0 .LBB15_726
; %bb.725:
	s_wait_xcnt 0x0
	v_trunc_f32_e32 v1, v4
	s_mov_b32 s27, -1
	s_mov_b32 s0, 0
	s_mov_b32 s28, 0
	s_delay_alu instid0(VALU_DEP_1) | instskip(NEXT) | instid1(VALU_DEP_1)
	v_mul_f32_e32 v5, 0x2f800000, v1
	v_floor_f32_e32 v5, v5
	s_delay_alu instid0(VALU_DEP_1) | instskip(SKIP_1) | instid1(VALU_DEP_2)
	v_fmamk_f32 v1, v5, 0xcf800000, v1
	v_cvt_u32_f32_e32 v7, v5
	v_cvt_u32_f32_e32 v6, v1
	global_store_b64 v[2:3], v[6:7], off
	s_branch .LBB15_727
.LBB15_726:
	s_mov_b32 s28, 0
.LBB15_727:
	s_delay_alu instid0(SALU_CYCLE_1)
	s_and_b32 vcc_lo, exec_lo, s28
	s_cbranch_vccz .LBB15_743
; %bb.728:
	s_cmp_lt_i32 s26, 27
	s_mov_b32 s27, -1
	s_cbranch_scc1 .LBB15_734
; %bb.729:
	s_wait_xcnt 0x0
	v_cvt_u32_f32_e32 v1, v4
	s_cmp_gt_i32 s26, 27
	s_cbranch_scc0 .LBB15_731
; %bb.730:
	s_mov_b32 s27, 0
	global_store_b32 v[2:3], v1, off
.LBB15_731:
	s_and_not1_b32 vcc_lo, exec_lo, s27
	s_cbranch_vccnz .LBB15_733
; %bb.732:
	global_store_b16 v[2:3], v1, off
.LBB15_733:
	s_mov_b32 s27, 0
.LBB15_734:
	s_delay_alu instid0(SALU_CYCLE_1)
	s_and_not1_b32 vcc_lo, exec_lo, s27
	s_cbranch_vccnz .LBB15_742
; %bb.735:
	s_wait_xcnt 0x0
	v_and_b32_e32 v1, 0x7fffffff, v4
	v_mov_b32_e32 v5, 0x80
	s_mov_b32 s27, exec_lo
	s_delay_alu instid0(VALU_DEP_2)
	v_cmpx_gt_u32_e32 0x43800000, v1
	s_cbranch_execz .LBB15_741
; %bb.736:
	v_cmp_lt_u32_e32 vcc_lo, 0x3bffffff, v1
	s_mov_b32 s28, 0
                                        ; implicit-def: $vgpr1
	s_and_saveexec_b32 s29, vcc_lo
	s_delay_alu instid0(SALU_CYCLE_1)
	s_xor_b32 s29, exec_lo, s29
	s_cbranch_execz .LBB15_860
; %bb.737:
	v_bfe_u32 v1, v4, 20, 1
	s_mov_b32 s28, exec_lo
	s_delay_alu instid0(VALU_DEP_1) | instskip(NEXT) | instid1(VALU_DEP_1)
	v_add3_u32 v1, v4, v1, 0x487ffff
	v_lshrrev_b32_e32 v1, 20, v1
	s_and_not1_saveexec_b32 s29, s29
	s_cbranch_execnz .LBB15_861
.LBB15_738:
	s_or_b32 exec_lo, exec_lo, s29
	v_mov_b32_e32 v5, 0
	s_and_saveexec_b32 s29, s28
.LBB15_739:
	v_lshrrev_b32_e32 v5, 24, v4
	s_delay_alu instid0(VALU_DEP_1)
	v_and_or_b32 v5, 0x80, v5, v1
.LBB15_740:
	s_or_b32 exec_lo, exec_lo, s29
.LBB15_741:
	s_delay_alu instid0(SALU_CYCLE_1)
	s_or_b32 exec_lo, exec_lo, s27
	global_store_b8 v[2:3], v5, off
.LBB15_742:
	s_mov_b32 s27, -1
.LBB15_743:
	s_mov_b32 s28, 0
.LBB15_744:
	s_delay_alu instid0(SALU_CYCLE_1)
	s_and_b32 vcc_lo, exec_lo, s28
	s_cbranch_vccz .LBB15_785
; %bb.745:
	s_cmp_gt_i32 s26, 22
	s_mov_b32 s28, -1
	s_cbranch_scc0 .LBB15_777
; %bb.746:
	s_cmp_lt_i32 s26, 24
	s_mov_b32 s27, -1
	s_cbranch_scc1 .LBB15_766
; %bb.747:
	s_cmp_gt_i32 s26, 24
	s_cbranch_scc0 .LBB15_755
; %bb.748:
	s_wait_xcnt 0x0
	v_and_b32_e32 v1, 0x7fffffff, v4
	v_mov_b32_e32 v5, 0x80
	s_mov_b32 s27, exec_lo
	s_delay_alu instid0(VALU_DEP_2)
	v_cmpx_gt_u32_e32 0x47800000, v1
	s_cbranch_execz .LBB15_754
; %bb.749:
	v_cmp_lt_u32_e32 vcc_lo, 0x37ffffff, v1
	s_mov_b32 s28, 0
                                        ; implicit-def: $vgpr1
	s_and_saveexec_b32 s29, vcc_lo
	s_delay_alu instid0(SALU_CYCLE_1)
	s_xor_b32 s29, exec_lo, s29
	s_cbranch_execz .LBB15_863
; %bb.750:
	v_bfe_u32 v1, v4, 21, 1
	s_mov_b32 s28, exec_lo
	s_delay_alu instid0(VALU_DEP_1) | instskip(NEXT) | instid1(VALU_DEP_1)
	v_add3_u32 v1, v4, v1, 0x88fffff
	v_lshrrev_b32_e32 v1, 21, v1
	s_and_not1_saveexec_b32 s29, s29
	s_cbranch_execnz .LBB15_864
.LBB15_751:
	s_or_b32 exec_lo, exec_lo, s29
	v_mov_b32_e32 v5, 0
	s_and_saveexec_b32 s29, s28
.LBB15_752:
	v_lshrrev_b32_e32 v5, 24, v4
	s_delay_alu instid0(VALU_DEP_1)
	v_and_or_b32 v5, 0x80, v5, v1
.LBB15_753:
	s_or_b32 exec_lo, exec_lo, s29
.LBB15_754:
	s_delay_alu instid0(SALU_CYCLE_1)
	s_or_b32 exec_lo, exec_lo, s27
	s_mov_b32 s27, 0
	global_store_b8 v[2:3], v5, off
.LBB15_755:
	s_and_b32 vcc_lo, exec_lo, s27
	s_cbranch_vccz .LBB15_765
; %bb.756:
	s_wait_xcnt 0x0
	v_and_b32_e32 v5, 0x7fffffff, v4
	s_mov_b32 s27, exec_lo
                                        ; implicit-def: $vgpr1
	s_delay_alu instid0(VALU_DEP_1)
	v_cmpx_gt_u32_e32 0x43f00000, v5
	s_xor_b32 s27, exec_lo, s27
	s_cbranch_execz .LBB15_762
; %bb.757:
	s_mov_b32 s28, exec_lo
                                        ; implicit-def: $vgpr1
	v_cmpx_lt_u32_e32 0x3c7fffff, v5
	s_xor_b32 s28, exec_lo, s28
; %bb.758:
	v_bfe_u32 v1, v4, 20, 1
	s_delay_alu instid0(VALU_DEP_1) | instskip(NEXT) | instid1(VALU_DEP_1)
	v_add3_u32 v1, v4, v1, 0x407ffff
	v_and_b32_e32 v5, 0xff00000, v1
	v_lshrrev_b32_e32 v1, 20, v1
	s_delay_alu instid0(VALU_DEP_2) | instskip(NEXT) | instid1(VALU_DEP_2)
	v_cmp_ne_u32_e32 vcc_lo, 0x7f00000, v5
	v_cndmask_b32_e32 v1, 0x7e, v1, vcc_lo
; %bb.759:
	s_and_not1_saveexec_b32 s28, s28
; %bb.760:
	v_add_f32_e64 v1, 0x46800000, |v4|
; %bb.761:
	s_or_b32 exec_lo, exec_lo, s28
                                        ; implicit-def: $vgpr5
.LBB15_762:
	s_and_not1_saveexec_b32 s27, s27
; %bb.763:
	v_mov_b32_e32 v1, 0x7f
	v_cmp_lt_u32_e32 vcc_lo, 0x7f800000, v5
	s_delay_alu instid0(VALU_DEP_2)
	v_cndmask_b32_e32 v1, 0x7e, v1, vcc_lo
; %bb.764:
	s_or_b32 exec_lo, exec_lo, s27
	v_lshrrev_b32_e32 v5, 24, v4
	s_delay_alu instid0(VALU_DEP_1)
	v_and_or_b32 v1, 0x80, v5, v1
	global_store_b8 v[2:3], v1, off
.LBB15_765:
	s_mov_b32 s27, 0
.LBB15_766:
	s_delay_alu instid0(SALU_CYCLE_1)
	s_and_not1_b32 vcc_lo, exec_lo, s27
	s_cbranch_vccnz .LBB15_776
; %bb.767:
	s_wait_xcnt 0x0
	v_and_b32_e32 v5, 0x7fffffff, v4
	s_mov_b32 s27, exec_lo
                                        ; implicit-def: $vgpr1
	s_delay_alu instid0(VALU_DEP_1)
	v_cmpx_gt_u32_e32 0x47800000, v5
	s_xor_b32 s27, exec_lo, s27
	s_cbranch_execz .LBB15_773
; %bb.768:
	s_mov_b32 s28, exec_lo
                                        ; implicit-def: $vgpr1
	v_cmpx_lt_u32_e32 0x387fffff, v5
	s_xor_b32 s28, exec_lo, s28
; %bb.769:
	v_bfe_u32 v1, v4, 21, 1
	s_delay_alu instid0(VALU_DEP_1) | instskip(NEXT) | instid1(VALU_DEP_1)
	v_add3_u32 v1, v4, v1, 0x80fffff
	v_lshrrev_b32_e32 v1, 21, v1
; %bb.770:
	s_and_not1_saveexec_b32 s28, s28
; %bb.771:
	v_add_f32_e64 v1, 0x43000000, |v4|
; %bb.772:
	s_or_b32 exec_lo, exec_lo, s28
                                        ; implicit-def: $vgpr5
.LBB15_773:
	s_and_not1_saveexec_b32 s27, s27
; %bb.774:
	v_mov_b32_e32 v1, 0x7f
	v_cmp_lt_u32_e32 vcc_lo, 0x7f800000, v5
	s_delay_alu instid0(VALU_DEP_2)
	v_cndmask_b32_e32 v1, 0x7c, v1, vcc_lo
; %bb.775:
	s_or_b32 exec_lo, exec_lo, s27
	v_lshrrev_b32_e32 v5, 24, v4
	s_delay_alu instid0(VALU_DEP_1)
	v_and_or_b32 v1, 0x80, v5, v1
	global_store_b8 v[2:3], v1, off
.LBB15_776:
	s_mov_b32 s28, 0
	s_mov_b32 s27, -1
.LBB15_777:
	s_and_not1_b32 vcc_lo, exec_lo, s28
	s_cbranch_vccnz .LBB15_785
; %bb.778:
	s_cmp_gt_i32 s26, 14
	s_mov_b32 s28, -1
	s_cbranch_scc0 .LBB15_782
; %bb.779:
	s_cmp_eq_u32 s26, 15
	s_mov_b32 s0, -1
	s_cbranch_scc0 .LBB15_781
; %bb.780:
	s_wait_xcnt 0x0
	v_bfe_u32 v1, v4, 16, 1
	v_cmp_o_f32_e32 vcc_lo, v4, v4
	s_mov_b32 s27, -1
	s_mov_b32 s0, 0
	s_delay_alu instid0(VALU_DEP_2) | instskip(NEXT) | instid1(VALU_DEP_1)
	v_add3_u32 v1, v4, v1, 0x7fff
	v_lshrrev_b32_e32 v1, 16, v1
	s_delay_alu instid0(VALU_DEP_1)
	v_cndmask_b32_e32 v1, 0x7fc0, v1, vcc_lo
	global_store_b16 v[2:3], v1, off
.LBB15_781:
	s_mov_b32 s28, 0
.LBB15_782:
	s_delay_alu instid0(SALU_CYCLE_1)
	s_and_b32 vcc_lo, exec_lo, s28
	s_cbranch_vccz .LBB15_785
; %bb.783:
	s_cmp_eq_u32 s26, 11
	s_mov_b32 s0, -1
	s_cbranch_scc0 .LBB15_785
; %bb.784:
	v_cmp_neq_f32_e32 vcc_lo, 0, v4
	s_mov_b32 s0, 0
	s_mov_b32 s27, -1
	s_wait_xcnt 0x0
	v_cndmask_b32_e64 v1, 0, 1, vcc_lo
	global_store_b8 v[2:3], v1, off
.LBB15_785:
	s_mov_b32 s26, 0
.LBB15_786:
	s_delay_alu instid0(SALU_CYCLE_1)
	s_and_b32 vcc_lo, exec_lo, s26
	s_cbranch_vccz .LBB15_825
; %bb.787:
	s_and_b32 s25, 0xffff, s25
	s_mov_b32 s26, -1
	s_cmp_lt_i32 s25, 5
	s_cbranch_scc1 .LBB15_808
; %bb.788:
	s_cmp_lt_i32 s25, 8
	s_cbranch_scc1 .LBB15_798
; %bb.789:
	;; [unrolled: 3-line block ×3, first 2 shown]
	s_cmp_gt_i32 s25, 9
	s_cbranch_scc0 .LBB15_792
; %bb.791:
	s_wait_xcnt 0x0
	v_cvt_f64_f32_e32 v[6:7], v4
	v_mov_b32_e32 v8, 0
	s_mov_b32 s26, 0
	s_delay_alu instid0(VALU_DEP_1)
	v_mov_b32_e32 v9, v8
	global_store_b128 v[2:3], v[6:9], off
.LBB15_792:
	s_and_not1_b32 vcc_lo, exec_lo, s26
	s_cbranch_vccnz .LBB15_794
; %bb.793:
	s_wait_xcnt 0x0
	v_mov_b32_e32 v5, 0
	global_store_b64 v[2:3], v[4:5], off
.LBB15_794:
	s_mov_b32 s26, 0
.LBB15_795:
	s_delay_alu instid0(SALU_CYCLE_1)
	s_and_not1_b32 vcc_lo, exec_lo, s26
	s_cbranch_vccnz .LBB15_797
; %bb.796:
	s_wait_xcnt 0x0
	v_cvt_f16_f32_e32 v1, v4
	s_delay_alu instid0(VALU_DEP_1)
	v_and_b32_e32 v1, 0xffff, v1
	global_store_b32 v[2:3], v1, off
.LBB15_797:
	s_mov_b32 s26, 0
.LBB15_798:
	s_delay_alu instid0(SALU_CYCLE_1)
	s_and_not1_b32 vcc_lo, exec_lo, s26
	s_cbranch_vccnz .LBB15_807
; %bb.799:
	s_cmp_lt_i32 s25, 6
	s_mov_b32 s26, -1
	s_cbranch_scc1 .LBB15_805
; %bb.800:
	s_cmp_gt_i32 s25, 6
	s_cbranch_scc0 .LBB15_802
; %bb.801:
	s_wait_xcnt 0x0
	v_cvt_f64_f32_e32 v[6:7], v4
	s_mov_b32 s26, 0
	global_store_b64 v[2:3], v[6:7], off
.LBB15_802:
	s_and_not1_b32 vcc_lo, exec_lo, s26
	s_cbranch_vccnz .LBB15_804
; %bb.803:
	global_store_b32 v[2:3], v4, off
.LBB15_804:
	s_mov_b32 s26, 0
.LBB15_805:
	s_delay_alu instid0(SALU_CYCLE_1)
	s_and_not1_b32 vcc_lo, exec_lo, s26
	s_cbranch_vccnz .LBB15_807
; %bb.806:
	s_wait_xcnt 0x0
	v_cvt_f16_f32_e32 v1, v4
	global_store_b16 v[2:3], v1, off
.LBB15_807:
	s_mov_b32 s26, 0
.LBB15_808:
	s_delay_alu instid0(SALU_CYCLE_1)
	s_and_not1_b32 vcc_lo, exec_lo, s26
	s_cbranch_vccnz .LBB15_824
; %bb.809:
	s_cmp_lt_i32 s25, 2
	s_mov_b32 s26, -1
	s_cbranch_scc1 .LBB15_819
; %bb.810:
	s_cmp_lt_i32 s25, 3
	s_cbranch_scc1 .LBB15_816
; %bb.811:
	s_cmp_gt_i32 s25, 3
	s_cbranch_scc0 .LBB15_813
; %bb.812:
	s_wait_xcnt 0x0
	v_trunc_f32_e32 v1, v4
	s_mov_b32 s26, 0
	s_delay_alu instid0(VALU_DEP_1) | instskip(SKIP_1) | instid1(VALU_DEP_2)
	v_mul_f32_e64 v5, 0x2f800000, |v1|
	v_ashrrev_i32_e32 v6, 31, v1
	v_floor_f32_e32 v5, v5
	s_delay_alu instid0(VALU_DEP_1) | instskip(SKIP_1) | instid1(VALU_DEP_2)
	v_fma_f32 v7, 0xcf800000, v5, |v1|
	v_cvt_u32_f32_e32 v1, v5
	v_cvt_u32_f32_e32 v5, v7
	s_delay_alu instid0(VALU_DEP_2) | instskip(NEXT) | instid1(VALU_DEP_2)
	v_dual_mov_b32 v7, v6 :: v_dual_bitop2_b32 v9, v1, v6 bitop3:0x14
	v_xor_b32_e32 v8, v5, v6
	s_delay_alu instid0(VALU_DEP_1)
	v_sub_nc_u64_e32 v[6:7], v[8:9], v[6:7]
	global_store_b64 v[2:3], v[6:7], off
.LBB15_813:
	s_and_not1_b32 vcc_lo, exec_lo, s26
	s_cbranch_vccnz .LBB15_815
; %bb.814:
	s_wait_xcnt 0x0
	v_cvt_i32_f32_e32 v1, v4
	global_store_b32 v[2:3], v1, off
.LBB15_815:
	s_mov_b32 s26, 0
.LBB15_816:
	s_delay_alu instid0(SALU_CYCLE_1)
	s_and_not1_b32 vcc_lo, exec_lo, s26
	s_cbranch_vccnz .LBB15_818
; %bb.817:
	s_wait_xcnt 0x0
	v_cvt_i32_f32_e32 v1, v4
	global_store_b16 v[2:3], v1, off
.LBB15_818:
	s_mov_b32 s26, 0
.LBB15_819:
	s_delay_alu instid0(SALU_CYCLE_1)
	s_and_not1_b32 vcc_lo, exec_lo, s26
	s_cbranch_vccnz .LBB15_824
; %bb.820:
	s_cmp_gt_i32 s25, 0
	s_mov_b32 s25, -1
	s_cbranch_scc0 .LBB15_822
; %bb.821:
	s_wait_xcnt 0x0
	v_cvt_i32_f32_e32 v1, v4
	s_mov_b32 s25, 0
	global_store_b8 v[2:3], v1, off
.LBB15_822:
	s_and_not1_b32 vcc_lo, exec_lo, s25
	s_cbranch_vccnz .LBB15_824
; %bb.823:
	s_wait_xcnt 0x0
	v_trunc_f32_e32 v1, v4
	s_delay_alu instid0(VALU_DEP_1) | instskip(NEXT) | instid1(VALU_DEP_1)
	v_mul_f32_e64 v4, 0x2f800000, |v1|
	v_floor_f32_e32 v4, v4
	s_delay_alu instid0(VALU_DEP_1) | instskip(SKIP_1) | instid1(VALU_DEP_2)
	v_fma_f32 v4, 0xcf800000, v4, |v1|
	v_ashrrev_i32_e32 v1, 31, v1
	v_cvt_u32_f32_e32 v4, v4
	s_delay_alu instid0(VALU_DEP_1) | instskip(NEXT) | instid1(VALU_DEP_1)
	v_xor_b32_e32 v4, v4, v1
	v_sub_nc_u32_e32 v1, v4, v1
	global_store_b8 v[2:3], v1, off
.LBB15_824:
	s_mov_b32 s27, -1
.LBB15_825:
	s_delay_alu instid0(SALU_CYCLE_1)
	s_and_not1_b32 vcc_lo, exec_lo, s27
	s_cbranch_vccnz .LBB15_827
; %bb.826:
	v_add_nc_u32_e32 v0, 0x80, v0
	s_mov_b32 s25, -1
	s_branch .LBB15_829
.LBB15_827:
	s_mov_b32 s25, 0
.LBB15_828:
                                        ; implicit-def: $vgpr0
.LBB15_829:
	s_and_not1_b32 s26, s44, exec_lo
	s_and_b32 s0, s0, exec_lo
	s_and_not1_b32 s27, s43, exec_lo
	s_and_b32 s24, s24, exec_lo
	s_or_b32 s28, s26, s0
	s_or_b32 s0, s27, s24
	s_or_not1_b32 s27, s25, exec_lo
.LBB15_830:
	s_wait_xcnt 0x0
	s_or_b32 exec_lo, exec_lo, s46
	s_mov_b32 s25, 0
	s_mov_b32 s24, 0
	;; [unrolled: 1-line block ×3, first 2 shown]
                                        ; implicit-def: $vgpr4_vgpr5
                                        ; implicit-def: $vgpr2
                                        ; implicit-def: $vgpr1
	s_and_saveexec_b32 s29, s27
	s_cbranch_execz .LBB15_932
; %bb.831:
	v_cmp_gt_i32_e32 vcc_lo, s37, v0
	s_mov_b32 s27, s0
                                        ; implicit-def: $vgpr4_vgpr5
                                        ; implicit-def: $vgpr2
                                        ; implicit-def: $vgpr1
	s_and_saveexec_b32 s37, vcc_lo
	s_cbranch_execz .LBB15_931
; %bb.832:
	s_and_not1_b32 vcc_lo, exec_lo, s34
	s_cbranch_vccnz .LBB15_838
; %bb.833:
	s_and_not1_b32 vcc_lo, exec_lo, s39
	s_cbranch_vccnz .LBB15_839
; %bb.834:
	s_add_co_i32 s38, s38, 1
	s_cmp_eq_u32 s31, 2
	s_cbranch_scc1 .LBB15_840
; %bb.835:
	v_dual_mov_b32 v2, 0 :: v_dual_mov_b32 v4, 0
	s_wait_loadcnt 0x0
	v_mov_b32_e32 v1, v0
	s_and_b32 s24, s38, 28
	s_mov_b64 s[26:27], s[2:3]
.LBB15_836:                             ; =>This Inner Loop Header: Depth=1
	s_clause 0x1
	s_load_b256 s[48:55], s[26:27], 0x4
	s_load_b128 s[64:67], s[26:27], 0x24
	s_load_b256 s[56:63], s[22:23], 0x0
	s_add_co_i32 s25, s25, 4
	s_wait_xcnt 0x0
	s_add_nc_u64 s[26:27], s[26:27], 48
	s_cmp_eq_u32 s24, s25
	s_add_nc_u64 s[22:23], s[22:23], 32
	s_wait_kmcnt 0x0
	v_mul_hi_u32 v3, s49, v1
	s_delay_alu instid0(VALU_DEP_1) | instskip(NEXT) | instid1(VALU_DEP_1)
	v_add_nc_u32_e32 v3, v1, v3
	v_lshrrev_b32_e32 v3, s50, v3
	s_delay_alu instid0(VALU_DEP_1) | instskip(NEXT) | instid1(VALU_DEP_1)
	v_mul_hi_u32 v5, s52, v3
	v_add_nc_u32_e32 v5, v3, v5
	s_delay_alu instid0(VALU_DEP_1) | instskip(NEXT) | instid1(VALU_DEP_1)
	v_lshrrev_b32_e32 v5, s53, v5
	v_mul_hi_u32 v6, s55, v5
	s_delay_alu instid0(VALU_DEP_1) | instskip(SKIP_1) | instid1(VALU_DEP_1)
	v_add_nc_u32_e32 v6, v5, v6
	v_mul_lo_u32 v7, v3, s48
	v_sub_nc_u32_e32 v1, v1, v7
	v_mul_lo_u32 v7, v5, s51
	s_delay_alu instid0(VALU_DEP_4) | instskip(NEXT) | instid1(VALU_DEP_3)
	v_lshrrev_b32_e32 v6, s64, v6
	v_mad_u32 v4, v1, s57, v4
	v_mad_u32 v1, v1, s56, v2
	s_delay_alu instid0(VALU_DEP_4) | instskip(NEXT) | instid1(VALU_DEP_4)
	v_sub_nc_u32_e32 v2, v3, v7
	v_mul_hi_u32 v8, s66, v6
	v_mul_lo_u32 v3, v6, s54
	s_delay_alu instid0(VALU_DEP_3) | instskip(SKIP_1) | instid1(VALU_DEP_3)
	v_mad_u32 v4, v2, s59, v4
	v_mad_u32 v2, v2, s58, v1
	v_dual_add_nc_u32 v7, v6, v8 :: v_dual_sub_nc_u32 v3, v5, v3
	s_delay_alu instid0(VALU_DEP_1) | instskip(NEXT) | instid1(VALU_DEP_2)
	v_lshrrev_b32_e32 v1, s67, v7
	v_mad_u32 v4, v3, s61, v4
	s_delay_alu instid0(VALU_DEP_4) | instskip(NEXT) | instid1(VALU_DEP_3)
	v_mad_u32 v2, v3, s60, v2
	v_mul_lo_u32 v5, v1, s65
	s_delay_alu instid0(VALU_DEP_1) | instskip(NEXT) | instid1(VALU_DEP_1)
	v_sub_nc_u32_e32 v3, v6, v5
	v_mad_u32 v4, v3, s63, v4
	s_delay_alu instid0(VALU_DEP_4)
	v_mad_u32 v2, v3, s62, v2
	s_cbranch_scc0 .LBB15_836
; %bb.837:
	s_delay_alu instid0(VALU_DEP_2)
	v_mov_b32_e32 v3, v4
	s_branch .LBB15_841
.LBB15_838:
	s_mov_b32 s22, -1
                                        ; implicit-def: $vgpr4
                                        ; implicit-def: $vgpr2
	s_branch .LBB15_846
.LBB15_839:
	v_dual_mov_b32 v4, 0 :: v_dual_mov_b32 v2, 0
	s_branch .LBB15_845
.LBB15_840:
	v_mov_b64_e32 v[2:3], 0
	s_wait_loadcnt 0x0
	v_mov_b32_e32 v1, v0
                                        ; implicit-def: $vgpr4
.LBB15_841:
	s_and_b32 s26, s38, 3
	s_mov_b32 s25, 0
	s_cmp_eq_u32 s26, 0
	s_cbranch_scc1 .LBB15_845
; %bb.842:
	s_lshl_b32 s22, s24, 3
	s_mov_b32 s23, s25
	s_mul_u64 s[24:25], s[24:25], 12
	s_add_nc_u64 s[22:23], s[2:3], s[22:23]
	s_add_nc_u64 s[24:25], s[2:3], s[24:25]
	s_add_nc_u64 s[22:23], s[22:23], 0xc4
.LBB15_843:                             ; =>This Inner Loop Header: Depth=1
	s_load_b96 s[48:50], s[24:25], 0x4
	s_load_b64 s[38:39], s[22:23], 0x0
	s_add_co_i32 s26, s26, -1
	s_wait_xcnt 0x0
	s_add_nc_u64 s[24:25], s[24:25], 12
	s_cmp_lg_u32 s26, 0
	s_add_nc_u64 s[22:23], s[22:23], 8
	s_wait_kmcnt 0x0
	v_mul_hi_u32 v4, s49, v1
	s_delay_alu instid0(VALU_DEP_1) | instskip(NEXT) | instid1(VALU_DEP_1)
	v_add_nc_u32_e32 v4, v1, v4
	v_lshrrev_b32_e32 v4, s50, v4
	s_delay_alu instid0(VALU_DEP_1) | instskip(NEXT) | instid1(VALU_DEP_1)
	v_mul_lo_u32 v5, v4, s48
	v_sub_nc_u32_e32 v1, v1, v5
	s_delay_alu instid0(VALU_DEP_1)
	v_mad_u32 v3, v1, s39, v3
	v_mad_u32 v2, v1, s38, v2
	v_mov_b32_e32 v1, v4
	s_cbranch_scc1 .LBB15_843
; %bb.844:
	s_delay_alu instid0(VALU_DEP_3)
	v_mov_b32_e32 v4, v3
.LBB15_845:
	s_mov_b32 s22, 0
.LBB15_846:
	s_delay_alu instid0(SALU_CYCLE_1)
	s_and_not1_b32 vcc_lo, exec_lo, s22
	s_cbranch_vccnz .LBB15_849
; %bb.847:
	s_wait_loadcnt 0x0
	v_mov_b32_e32 v1, 0
	s_and_not1_b32 vcc_lo, exec_lo, s36
	s_delay_alu instid0(VALU_DEP_1) | instskip(NEXT) | instid1(VALU_DEP_1)
	v_mul_u64_e32 v[2:3], s[18:19], v[0:1]
	v_add_nc_u32_e32 v2, v0, v3
	s_delay_alu instid0(VALU_DEP_1) | instskip(NEXT) | instid1(VALU_DEP_1)
	v_lshrrev_b32_e32 v6, s10, v2
	v_mul_lo_u32 v2, v6, s8
	s_delay_alu instid0(VALU_DEP_1) | instskip(NEXT) | instid1(VALU_DEP_1)
	v_sub_nc_u32_e32 v0, v0, v2
	v_mul_lo_u32 v4, v0, s13
	v_mul_lo_u32 v2, v0, s12
	s_cbranch_vccnz .LBB15_849
; %bb.848:
	v_mov_b32_e32 v7, v1
	s_delay_alu instid0(VALU_DEP_1) | instskip(NEXT) | instid1(VALU_DEP_1)
	v_mul_u64_e32 v[0:1], s[20:21], v[6:7]
	v_add_nc_u32_e32 v0, v6, v1
	s_delay_alu instid0(VALU_DEP_1) | instskip(NEXT) | instid1(VALU_DEP_1)
	v_lshrrev_b32_e32 v0, s1, v0
	v_mul_lo_u32 v0, v0, s11
	s_delay_alu instid0(VALU_DEP_1) | instskip(NEXT) | instid1(VALU_DEP_1)
	v_sub_nc_u32_e32 v0, v6, v0
	v_mad_u32 v2, v0, s14, v2
	v_mad_u32 v4, v0, s15, v4
.LBB15_849:
	v_mov_b32_e32 v5, 0
	s_and_b32 s1, 0xffff, s9
	s_delay_alu instid0(SALU_CYCLE_1) | instskip(NEXT) | instid1(VALU_DEP_1)
	s_cmp_lt_i32 s1, 11
	v_add_nc_u64_e32 v[4:5], s[6:7], v[4:5]
	s_cbranch_scc1 .LBB15_856
; %bb.850:
	s_cmp_gt_i32 s1, 25
	s_mov_b32 s7, 0
	s_cbranch_scc0 .LBB15_857
; %bb.851:
	s_cmp_gt_i32 s1, 28
	s_cbranch_scc0 .LBB15_858
; %bb.852:
	s_cmp_gt_i32 s1, 43
	s_cbranch_scc0 .LBB15_859
; %bb.853:
	s_cmp_gt_i32 s1, 45
	s_cbranch_scc0 .LBB15_862
; %bb.854:
	s_cmp_eq_u32 s1, 46
	s_mov_b32 s10, 0
	s_cbranch_scc0 .LBB15_865
; %bb.855:
	global_load_b32 v0, v[4:5], off
	s_mov_b32 s6, 0
	s_mov_b32 s8, -1
	s_wait_loadcnt 0x0
	v_lshlrev_b32_e32 v1, 16, v0
	s_branch .LBB15_867
.LBB15_856:
	s_mov_b32 s1, -1
	s_mov_b32 s8, 0
	s_mov_b32 s7, 0
	;; [unrolled: 1-line block ×3, first 2 shown]
                                        ; implicit-def: $vgpr1
	s_branch .LBB15_930
.LBB15_857:
	s_mov_b32 s10, -1
	s_mov_b32 s8, 0
	s_mov_b32 s6, s0
                                        ; implicit-def: $vgpr1
	s_branch .LBB15_896
.LBB15_858:
	s_mov_b32 s10, -1
	s_mov_b32 s8, 0
	s_mov_b32 s6, s0
                                        ; implicit-def: $vgpr1
	s_branch .LBB15_877
.LBB15_859:
	s_mov_b32 s10, -1
	s_mov_b32 s8, 0
	s_mov_b32 s6, s0
                                        ; implicit-def: $vgpr1
	s_branch .LBB15_872
.LBB15_860:
	s_and_not1_saveexec_b32 s29, s29
	s_cbranch_execz .LBB15_738
.LBB15_861:
	v_add_f32_e64 v1, 0x46000000, |v4|
	s_and_not1_b32 s28, s28, exec_lo
	s_delay_alu instid0(VALU_DEP_1) | instskip(NEXT) | instid1(VALU_DEP_1)
	v_and_b32_e32 v1, 0xff, v1
	v_cmp_ne_u32_e32 vcc_lo, 0, v1
	s_and_b32 s47, vcc_lo, exec_lo
	s_delay_alu instid0(SALU_CYCLE_1)
	s_or_b32 s28, s28, s47
	s_or_b32 exec_lo, exec_lo, s29
	v_mov_b32_e32 v5, 0
	s_and_saveexec_b32 s29, s28
	s_cbranch_execnz .LBB15_739
	s_branch .LBB15_740
.LBB15_862:
	s_mov_b32 s10, -1
	s_mov_b32 s8, 0
	s_mov_b32 s6, s0
	s_branch .LBB15_866
.LBB15_863:
	s_and_not1_saveexec_b32 s29, s29
	s_cbranch_execz .LBB15_751
.LBB15_864:
	v_add_f32_e64 v1, 0x42800000, |v4|
	s_and_not1_b32 s28, s28, exec_lo
	s_delay_alu instid0(VALU_DEP_1) | instskip(NEXT) | instid1(VALU_DEP_1)
	v_and_b32_e32 v1, 0xff, v1
	v_cmp_ne_u32_e32 vcc_lo, 0, v1
	s_and_b32 s47, vcc_lo, exec_lo
	s_delay_alu instid0(SALU_CYCLE_1)
	s_or_b32 s28, s28, s47
	s_or_b32 exec_lo, exec_lo, s29
	v_mov_b32_e32 v5, 0
	s_and_saveexec_b32 s29, s28
	s_cbranch_execnz .LBB15_752
	s_branch .LBB15_753
.LBB15_865:
	s_mov_b32 s6, -1
	s_mov_b32 s8, 0
.LBB15_866:
                                        ; implicit-def: $vgpr1
.LBB15_867:
	s_and_b32 vcc_lo, exec_lo, s10
	s_cbranch_vccz .LBB15_871
; %bb.868:
	s_cmp_eq_u32 s1, 44
	s_cbranch_scc0 .LBB15_870
; %bb.869:
	global_load_u8 v0, v[4:5], off
	s_mov_b32 s6, 0
	s_mov_b32 s8, -1
	s_wait_loadcnt 0x0
	v_lshlrev_b32_e32 v1, 23, v0
	v_cmp_ne_u32_e32 vcc_lo, 0xff, v0
	s_delay_alu instid0(VALU_DEP_2) | instskip(SKIP_1) | instid1(VALU_DEP_2)
	v_cndmask_b32_e32 v1, 0x7f800001, v1, vcc_lo
	v_cmp_ne_u32_e32 vcc_lo, 0, v0
	v_cndmask_b32_e32 v1, 0x400000, v1, vcc_lo
	s_branch .LBB15_871
.LBB15_870:
	s_mov_b32 s6, -1
                                        ; implicit-def: $vgpr1
.LBB15_871:
	s_mov_b32 s10, 0
.LBB15_872:
	s_delay_alu instid0(SALU_CYCLE_1)
	s_and_b32 vcc_lo, exec_lo, s10
	s_cbranch_vccz .LBB15_876
; %bb.873:
	s_cmp_eq_u32 s1, 29
	s_cbranch_scc0 .LBB15_875
; %bb.874:
	s_wait_loadcnt 0x0
	global_load_b64 v[0:1], v[4:5], off
	s_mov_b32 s6, 0
	s_mov_b32 s8, -1
	s_mov_b32 s10, 0
	s_wait_loadcnt 0x0
	v_clz_i32_u32_e32 v3, v1
	s_delay_alu instid0(VALU_DEP_1) | instskip(NEXT) | instid1(VALU_DEP_1)
	v_min_u32_e32 v3, 32, v3
	v_lshlrev_b64_e32 v[0:1], v3, v[0:1]
	s_delay_alu instid0(VALU_DEP_1) | instskip(NEXT) | instid1(VALU_DEP_1)
	v_min_u32_e32 v0, 1, v0
	v_dual_sub_nc_u32 v1, 32, v3 :: v_dual_bitop2_b32 v0, v1, v0 bitop3:0x54
	s_delay_alu instid0(VALU_DEP_1) | instskip(NEXT) | instid1(VALU_DEP_1)
	v_cvt_f32_u32_e32 v0, v0
	v_ldexp_f32 v1, v0, v1
	s_branch .LBB15_877
.LBB15_875:
	s_mov_b32 s6, -1
                                        ; implicit-def: $vgpr1
.LBB15_876:
	s_mov_b32 s10, 0
.LBB15_877:
	s_delay_alu instid0(SALU_CYCLE_1)
	s_and_b32 vcc_lo, exec_lo, s10
	s_cbranch_vccz .LBB15_895
; %bb.878:
	s_cmp_lt_i32 s1, 27
	s_cbranch_scc1 .LBB15_881
; %bb.879:
	s_cmp_gt_i32 s1, 27
	s_cbranch_scc0 .LBB15_882
; %bb.880:
	global_load_b32 v0, v[4:5], off
	s_mov_b32 s8, 0
	s_wait_loadcnt 0x0
	v_cvt_f32_u32_e32 v1, v0
	s_branch .LBB15_883
.LBB15_881:
	s_mov_b32 s8, -1
                                        ; implicit-def: $vgpr1
	s_branch .LBB15_886
.LBB15_882:
	s_mov_b32 s8, -1
                                        ; implicit-def: $vgpr1
.LBB15_883:
	s_delay_alu instid0(SALU_CYCLE_1)
	s_and_not1_b32 vcc_lo, exec_lo, s8
	s_cbranch_vccnz .LBB15_885
; %bb.884:
	global_load_u16 v0, v[4:5], off
	s_wait_loadcnt 0x0
	v_cvt_f32_u32_e32 v1, v0
.LBB15_885:
	s_mov_b32 s8, 0
.LBB15_886:
	s_delay_alu instid0(SALU_CYCLE_1)
	s_and_not1_b32 vcc_lo, exec_lo, s8
	s_cbranch_vccnz .LBB15_894
; %bb.887:
	global_load_u8 v0, v[4:5], off
	s_mov_b32 s8, 0
	s_mov_b32 s10, exec_lo
	s_wait_loadcnt 0x0
	v_cmpx_lt_i16_e32 0x7f, v0
	s_xor_b32 s10, exec_lo, s10
	s_cbranch_execz .LBB15_908
; %bb.888:
	s_mov_b32 s8, -1
	s_mov_b32 s11, exec_lo
	v_cmpx_eq_u16_e32 0x80, v0
; %bb.889:
	s_xor_b32 s8, exec_lo, -1
; %bb.890:
	s_or_b32 exec_lo, exec_lo, s11
	s_delay_alu instid0(SALU_CYCLE_1)
	s_and_b32 s8, s8, exec_lo
	s_or_saveexec_b32 s10, s10
	v_mov_b32_e32 v1, 0x7f800001
	s_xor_b32 exec_lo, exec_lo, s10
	s_cbranch_execnz .LBB15_909
.LBB15_891:
	s_or_b32 exec_lo, exec_lo, s10
	s_and_saveexec_b32 s10, s8
	s_cbranch_execz .LBB15_893
.LBB15_892:
	v_and_b32_e32 v1, 0xffff, v0
	s_delay_alu instid0(VALU_DEP_1) | instskip(SKIP_1) | instid1(VALU_DEP_2)
	v_and_b32_e32 v3, 7, v1
	v_bfe_u32 v8, v1, 3, 4
	v_clz_i32_u32_e32 v6, v3
	s_delay_alu instid0(VALU_DEP_2) | instskip(NEXT) | instid1(VALU_DEP_2)
	v_cmp_eq_u32_e32 vcc_lo, 0, v8
	v_min_u32_e32 v6, 32, v6
	s_delay_alu instid0(VALU_DEP_1) | instskip(NEXT) | instid1(VALU_DEP_1)
	v_subrev_nc_u32_e32 v7, 28, v6
	v_dual_lshlrev_b32 v1, v7, v1 :: v_dual_sub_nc_u32 v6, 29, v6
	s_delay_alu instid0(VALU_DEP_1) | instskip(NEXT) | instid1(VALU_DEP_1)
	v_dual_lshlrev_b32 v0, 24, v0 :: v_dual_bitop2_b32 v1, 7, v1 bitop3:0x40
	v_dual_cndmask_b32 v6, v8, v6 :: v_dual_cndmask_b32 v1, v3, v1
	s_delay_alu instid0(VALU_DEP_2) | instskip(NEXT) | instid1(VALU_DEP_2)
	v_and_b32_e32 v0, 0x80000000, v0
	v_lshl_add_u32 v3, v6, 23, 0x3b800000
	s_delay_alu instid0(VALU_DEP_3) | instskip(NEXT) | instid1(VALU_DEP_1)
	v_lshlrev_b32_e32 v1, 20, v1
	v_or3_b32 v1, v0, v3, v1
.LBB15_893:
	s_or_b32 exec_lo, exec_lo, s10
.LBB15_894:
	s_mov_b32 s8, -1
.LBB15_895:
	s_mov_b32 s10, 0
.LBB15_896:
	s_delay_alu instid0(SALU_CYCLE_1)
	s_and_b32 vcc_lo, exec_lo, s10
	s_cbranch_vccz .LBB15_929
; %bb.897:
	s_cmp_gt_i32 s1, 22
	s_cbranch_scc0 .LBB15_907
; %bb.898:
	s_cmp_lt_i32 s1, 24
	s_cbranch_scc1 .LBB15_910
; %bb.899:
	s_cmp_gt_i32 s1, 24
	s_cbranch_scc0 .LBB15_911
; %bb.900:
	global_load_u8 v0, v[4:5], off
	s_mov_b32 s8, exec_lo
	s_wait_loadcnt 0x0
	v_cmpx_lt_i16_e32 0x7f, v0
	s_xor_b32 s8, exec_lo, s8
	s_cbranch_execz .LBB15_923
; %bb.901:
	s_mov_b32 s7, -1
	s_mov_b32 s10, exec_lo
	v_cmpx_eq_u16_e32 0x80, v0
; %bb.902:
	s_xor_b32 s7, exec_lo, -1
; %bb.903:
	s_or_b32 exec_lo, exec_lo, s10
	s_delay_alu instid0(SALU_CYCLE_1)
	s_and_b32 s7, s7, exec_lo
	s_or_saveexec_b32 s8, s8
	v_mov_b32_e32 v1, 0x7f800001
	s_xor_b32 exec_lo, exec_lo, s8
	s_cbranch_execnz .LBB15_924
.LBB15_904:
	s_or_b32 exec_lo, exec_lo, s8
	s_and_saveexec_b32 s8, s7
	s_cbranch_execz .LBB15_906
.LBB15_905:
	v_and_b32_e32 v1, 0xffff, v0
	s_delay_alu instid0(VALU_DEP_1) | instskip(SKIP_1) | instid1(VALU_DEP_2)
	v_and_b32_e32 v3, 3, v1
	v_bfe_u32 v8, v1, 2, 5
	v_clz_i32_u32_e32 v6, v3
	s_delay_alu instid0(VALU_DEP_2) | instskip(NEXT) | instid1(VALU_DEP_2)
	v_cmp_eq_u32_e32 vcc_lo, 0, v8
	v_min_u32_e32 v6, 32, v6
	s_delay_alu instid0(VALU_DEP_1) | instskip(NEXT) | instid1(VALU_DEP_1)
	v_subrev_nc_u32_e32 v7, 29, v6
	v_dual_lshlrev_b32 v1, v7, v1 :: v_dual_sub_nc_u32 v6, 30, v6
	s_delay_alu instid0(VALU_DEP_1) | instskip(NEXT) | instid1(VALU_DEP_1)
	v_dual_lshlrev_b32 v0, 24, v0 :: v_dual_bitop2_b32 v1, 3, v1 bitop3:0x40
	v_dual_cndmask_b32 v6, v8, v6 :: v_dual_cndmask_b32 v1, v3, v1
	s_delay_alu instid0(VALU_DEP_2) | instskip(NEXT) | instid1(VALU_DEP_2)
	v_and_b32_e32 v0, 0x80000000, v0
	v_lshl_add_u32 v3, v6, 23, 0x37800000
	s_delay_alu instid0(VALU_DEP_3) | instskip(NEXT) | instid1(VALU_DEP_1)
	v_lshlrev_b32_e32 v1, 21, v1
	v_or3_b32 v1, v0, v3, v1
.LBB15_906:
	s_or_b32 exec_lo, exec_lo, s8
	s_mov_b32 s7, 0
	s_branch .LBB15_912
.LBB15_907:
	s_mov_b32 s7, -1
                                        ; implicit-def: $vgpr1
	s_branch .LBB15_918
.LBB15_908:
	s_or_saveexec_b32 s10, s10
	v_mov_b32_e32 v1, 0x7f800001
	s_xor_b32 exec_lo, exec_lo, s10
	s_cbranch_execz .LBB15_891
.LBB15_909:
	v_cmp_ne_u16_e32 vcc_lo, 0, v0
	v_mov_b32_e32 v1, 0
	s_and_not1_b32 s8, s8, exec_lo
	s_and_b32 s11, vcc_lo, exec_lo
	s_delay_alu instid0(SALU_CYCLE_1)
	s_or_b32 s8, s8, s11
	s_or_b32 exec_lo, exec_lo, s10
	s_and_saveexec_b32 s10, s8
	s_cbranch_execnz .LBB15_892
	s_branch .LBB15_893
.LBB15_910:
	s_mov_b32 s7, -1
                                        ; implicit-def: $vgpr1
	s_branch .LBB15_915
.LBB15_911:
	s_mov_b32 s7, -1
                                        ; implicit-def: $vgpr1
.LBB15_912:
	s_delay_alu instid0(SALU_CYCLE_1)
	s_and_b32 vcc_lo, exec_lo, s7
	s_cbranch_vccz .LBB15_914
; %bb.913:
	global_load_u8 v0, v[4:5], off
	s_wait_loadcnt 0x0
	v_lshlrev_b32_e32 v0, 24, v0
	s_delay_alu instid0(VALU_DEP_1) | instskip(NEXT) | instid1(VALU_DEP_1)
	v_and_b32_e32 v1, 0x7f000000, v0
	v_clz_i32_u32_e32 v3, v1
	v_add_nc_u32_e32 v7, 0x1000000, v1
	v_cmp_ne_u32_e32 vcc_lo, 0, v1
	s_delay_alu instid0(VALU_DEP_3) | instskip(NEXT) | instid1(VALU_DEP_1)
	v_min_u32_e32 v3, 32, v3
	v_sub_nc_u32_e64 v3, v3, 4 clamp
	s_delay_alu instid0(VALU_DEP_1) | instskip(NEXT) | instid1(VALU_DEP_1)
	v_dual_lshlrev_b32 v6, v3, v1 :: v_dual_lshlrev_b32 v3, 23, v3
	v_lshrrev_b32_e32 v6, 4, v6
	s_delay_alu instid0(VALU_DEP_1) | instskip(SKIP_1) | instid1(VALU_DEP_2)
	v_sub_nc_u32_e32 v3, v6, v3
	v_ashrrev_i32_e32 v6, 8, v7
	v_add_nc_u32_e32 v3, 0x3c000000, v3
	s_delay_alu instid0(VALU_DEP_1) | instskip(NEXT) | instid1(VALU_DEP_1)
	v_and_or_b32 v3, 0x7f800000, v6, v3
	v_cndmask_b32_e32 v1, 0, v3, vcc_lo
	s_delay_alu instid0(VALU_DEP_1)
	v_and_or_b32 v1, 0x80000000, v0, v1
.LBB15_914:
	s_mov_b32 s7, 0
.LBB15_915:
	s_delay_alu instid0(SALU_CYCLE_1)
	s_and_not1_b32 vcc_lo, exec_lo, s7
	s_cbranch_vccnz .LBB15_917
; %bb.916:
	global_load_u8 v0, v[4:5], off
	s_wait_loadcnt 0x0
	v_lshlrev_b32_e32 v1, 25, v0
	v_lshlrev_b16 v0, 8, v0
	s_delay_alu instid0(VALU_DEP_1) | instskip(SKIP_1) | instid1(VALU_DEP_2)
	v_and_or_b32 v6, 0x7f00, v0, 0.5
	v_bfe_i32 v0, v0, 0, 16
	v_dual_add_f32 v6, -0.5, v6 :: v_dual_lshrrev_b32 v3, 4, v1
	v_cmp_gt_u32_e32 vcc_lo, 0x8000000, v1
	s_delay_alu instid0(VALU_DEP_2) | instskip(NEXT) | instid1(VALU_DEP_1)
	v_or_b32_e32 v3, 0x70000000, v3
	v_mul_f32_e32 v3, 0x7800000, v3
	s_delay_alu instid0(VALU_DEP_1) | instskip(NEXT) | instid1(VALU_DEP_1)
	v_cndmask_b32_e32 v1, v3, v6, vcc_lo
	v_and_or_b32 v1, 0x80000000, v0, v1
.LBB15_917:
	s_mov_b32 s7, 0
	s_mov_b32 s8, -1
.LBB15_918:
	s_and_not1_b32 vcc_lo, exec_lo, s7
	s_mov_b32 s7, 0
	s_cbranch_vccnz .LBB15_929
; %bb.919:
	s_cmp_gt_i32 s1, 14
	s_cbranch_scc0 .LBB15_922
; %bb.920:
	s_cmp_eq_u32 s1, 15
	s_cbranch_scc0 .LBB15_925
; %bb.921:
	global_load_u16 v0, v[4:5], off
	s_mov_b32 s6, 0
	s_mov_b32 s8, -1
	s_wait_loadcnt 0x0
	v_lshlrev_b32_e32 v1, 16, v0
	s_branch .LBB15_927
.LBB15_922:
	s_mov_b32 s7, -1
	s_branch .LBB15_926
.LBB15_923:
	s_or_saveexec_b32 s8, s8
	v_mov_b32_e32 v1, 0x7f800001
	s_xor_b32 exec_lo, exec_lo, s8
	s_cbranch_execz .LBB15_904
.LBB15_924:
	v_cmp_ne_u16_e32 vcc_lo, 0, v0
	v_mov_b32_e32 v1, 0
	s_and_not1_b32 s7, s7, exec_lo
	s_and_b32 s10, vcc_lo, exec_lo
	s_delay_alu instid0(SALU_CYCLE_1)
	s_or_b32 s7, s7, s10
	s_or_b32 exec_lo, exec_lo, s8
	s_and_saveexec_b32 s8, s7
	s_cbranch_execnz .LBB15_905
	s_branch .LBB15_906
.LBB15_925:
	s_mov_b32 s6, -1
.LBB15_926:
                                        ; implicit-def: $vgpr1
.LBB15_927:
	s_and_b32 vcc_lo, exec_lo, s7
	s_mov_b32 s7, 0
	s_cbranch_vccz .LBB15_929
; %bb.928:
	s_cmp_lg_u32 s1, 11
	s_mov_b32 s7, -1
	s_cselect_b32 s1, -1, 0
	s_and_not1_b32 s6, s6, exec_lo
	s_and_b32 s1, s1, exec_lo
	s_delay_alu instid0(SALU_CYCLE_1)
	s_or_b32 s6, s6, s1
.LBB15_929:
	s_mov_b32 s1, 0
.LBB15_930:
	s_delay_alu instid0(SALU_CYCLE_1)
	s_and_b32 s24, s1, exec_lo
	s_and_not1_b32 s1, s0, exec_lo
	s_and_b32 s6, s6, exec_lo
	s_and_b32 s26, s8, exec_lo
	s_and_b32 s25, s7, exec_lo
	s_or_b32 s27, s1, s6
.LBB15_931:
	s_wait_xcnt 0x0
	s_or_b32 exec_lo, exec_lo, s37
	s_delay_alu instid0(SALU_CYCLE_1)
	s_and_not1_b32 s0, s0, exec_lo
	s_and_b32 s1, s27, exec_lo
	s_and_b32 s26, s26, exec_lo
	;; [unrolled: 1-line block ×4, first 2 shown]
	s_or_b32 s0, s0, s1
.LBB15_932:
	s_or_b32 exec_lo, exec_lo, s29
	s_delay_alu instid0(SALU_CYCLE_1)
	s_and_not1_b32 s1, s44, exec_lo
	s_and_b32 s6, s28, exec_lo
	s_and_b32 s0, s0, exec_lo
	s_or_b32 s44, s1, s6
	s_and_not1_b32 s1, s43, exec_lo
	s_and_b32 s26, s26, exec_lo
	s_and_b32 s24, s24, exec_lo
	;; [unrolled: 1-line block ×3, first 2 shown]
	s_or_b32 s43, s1, s0
.LBB15_933:
	s_or_b32 exec_lo, exec_lo, s45
	s_delay_alu instid0(SALU_CYCLE_1)
	s_and_not1_b32 s0, s40, exec_lo
	s_and_b32 s1, s44, exec_lo
	s_and_b32 s6, s43, exec_lo
	s_or_b32 s40, s0, s1
	s_and_not1_b32 s1, s41, exec_lo
	s_and_b32 s0, s26, exec_lo
	s_and_b32 s24, s24, exec_lo
	;; [unrolled: 1-line block ×3, first 2 shown]
	s_or_b32 s41, s1, s6
	s_or_b32 exec_lo, exec_lo, s42
	s_mov_b32 s1, 0
	s_and_saveexec_b32 s6, s41
	s_cbranch_execz .LBB15_278
.LBB15_934:
	s_mov_b32 s1, exec_lo
	s_and_not1_b32 s19, s19, exec_lo
	s_trap 2
	s_or_b32 exec_lo, exec_lo, s6
	s_and_saveexec_b32 s6, s19
	s_delay_alu instid0(SALU_CYCLE_1)
	s_xor_b32 s6, exec_lo, s6
	s_cbranch_execnz .LBB15_279
.LBB15_935:
	s_or_b32 exec_lo, exec_lo, s6
	s_and_saveexec_b32 s6, s24
	s_cbranch_execz .LBB15_981
.LBB15_936:
	s_sext_i32_i16 s7, s9
	s_delay_alu instid0(SALU_CYCLE_1)
	s_cmp_lt_i32 s7, 5
	s_cbranch_scc1 .LBB15_941
; %bb.937:
	s_cmp_lt_i32 s7, 8
	s_cbranch_scc1 .LBB15_942
; %bb.938:
	;; [unrolled: 3-line block ×3, first 2 shown]
	s_cmp_gt_i32 s7, 9
	s_cbranch_scc0 .LBB15_944
; %bb.940:
	s_wait_loadcnt 0x0
	global_load_b64 v[0:1], v[4:5], off
	s_mov_b32 s7, 0
	s_wait_loadcnt 0x0
	v_cvt_f32_f64_e32 v1, v[0:1]
	s_branch .LBB15_945
.LBB15_941:
                                        ; implicit-def: $vgpr1
	s_branch .LBB15_962
.LBB15_942:
                                        ; implicit-def: $vgpr1
	s_branch .LBB15_951
.LBB15_943:
	s_mov_b32 s7, -1
                                        ; implicit-def: $vgpr1
	s_branch .LBB15_948
.LBB15_944:
	s_mov_b32 s7, -1
                                        ; implicit-def: $vgpr1
.LBB15_945:
	s_delay_alu instid0(SALU_CYCLE_1)
	s_and_not1_b32 vcc_lo, exec_lo, s7
	s_cbranch_vccnz .LBB15_947
; %bb.946:
	s_wait_loadcnt 0x0
	global_load_b32 v1, v[4:5], off
.LBB15_947:
	s_mov_b32 s7, 0
.LBB15_948:
	s_delay_alu instid0(SALU_CYCLE_1)
	s_and_not1_b32 vcc_lo, exec_lo, s7
	s_cbranch_vccnz .LBB15_950
; %bb.949:
	global_load_b32 v0, v[4:5], off
	s_wait_loadcnt 0x0
	v_cvt_f32_f16_e32 v1, v0
.LBB15_950:
	s_cbranch_execnz .LBB15_961
.LBB15_951:
	s_sext_i32_i16 s7, s9
	s_delay_alu instid0(SALU_CYCLE_1)
	s_cmp_lt_i32 s7, 6
	s_cbranch_scc1 .LBB15_954
; %bb.952:
	s_cmp_gt_i32 s7, 6
	s_cbranch_scc0 .LBB15_955
; %bb.953:
	s_wait_loadcnt 0x0
	global_load_b64 v[0:1], v[4:5], off
	s_mov_b32 s7, 0
	s_wait_loadcnt 0x0
	v_cvt_f32_f64_e32 v1, v[0:1]
	s_branch .LBB15_956
.LBB15_954:
	s_mov_b32 s7, -1
                                        ; implicit-def: $vgpr1
	s_branch .LBB15_959
.LBB15_955:
	s_mov_b32 s7, -1
                                        ; implicit-def: $vgpr1
.LBB15_956:
	s_delay_alu instid0(SALU_CYCLE_1)
	s_and_not1_b32 vcc_lo, exec_lo, s7
	s_cbranch_vccnz .LBB15_958
; %bb.957:
	s_wait_loadcnt 0x0
	global_load_b32 v1, v[4:5], off
.LBB15_958:
	s_mov_b32 s7, 0
.LBB15_959:
	s_delay_alu instid0(SALU_CYCLE_1)
	s_and_not1_b32 vcc_lo, exec_lo, s7
	s_cbranch_vccnz .LBB15_961
; %bb.960:
	global_load_u16 v0, v[4:5], off
	s_wait_loadcnt 0x0
	v_cvt_f32_f16_e32 v1, v0
.LBB15_961:
	s_cbranch_execnz .LBB15_980
.LBB15_962:
	s_sext_i32_i16 s7, s9
	s_delay_alu instid0(SALU_CYCLE_1)
	s_cmp_lt_i32 s7, 2
	s_cbranch_scc1 .LBB15_966
; %bb.963:
	s_cmp_lt_i32 s7, 3
	s_cbranch_scc1 .LBB15_967
; %bb.964:
	s_cmp_gt_i32 s7, 3
	s_cbranch_scc0 .LBB15_968
; %bb.965:
	s_wait_loadcnt 0x0
	global_load_b64 v[0:1], v[4:5], off
	s_mov_b32 s7, 0
	s_wait_loadcnt 0x0
	v_xor_b32_e32 v3, v0, v1
	v_cls_i32_e32 v6, v1
	s_delay_alu instid0(VALU_DEP_2) | instskip(NEXT) | instid1(VALU_DEP_1)
	v_ashrrev_i32_e32 v3, 31, v3
	v_add_nc_u32_e32 v3, 32, v3
	s_delay_alu instid0(VALU_DEP_1) | instskip(NEXT) | instid1(VALU_DEP_1)
	v_add_min_u32_e64 v3, v6, -1, v3
	v_lshlrev_b64_e32 v[0:1], v3, v[0:1]
	s_delay_alu instid0(VALU_DEP_1) | instskip(NEXT) | instid1(VALU_DEP_1)
	v_min_u32_e32 v0, 1, v0
	v_dual_sub_nc_u32 v1, 32, v3 :: v_dual_bitop2_b32 v0, v1, v0 bitop3:0x54
	s_delay_alu instid0(VALU_DEP_1) | instskip(NEXT) | instid1(VALU_DEP_1)
	v_cvt_f32_i32_e32 v0, v0
	v_ldexp_f32 v1, v0, v1
	s_branch .LBB15_969
.LBB15_966:
                                        ; implicit-def: $vgpr1
	s_branch .LBB15_975
.LBB15_967:
	s_mov_b32 s7, -1
                                        ; implicit-def: $vgpr1
	s_branch .LBB15_972
.LBB15_968:
	s_mov_b32 s7, -1
                                        ; implicit-def: $vgpr1
.LBB15_969:
	s_delay_alu instid0(SALU_CYCLE_1)
	s_and_not1_b32 vcc_lo, exec_lo, s7
	s_cbranch_vccnz .LBB15_971
; %bb.970:
	global_load_b32 v0, v[4:5], off
	s_wait_loadcnt 0x0
	v_cvt_f32_i32_e32 v1, v0
.LBB15_971:
	s_mov_b32 s7, 0
.LBB15_972:
	s_delay_alu instid0(SALU_CYCLE_1)
	s_and_not1_b32 vcc_lo, exec_lo, s7
	s_cbranch_vccnz .LBB15_974
; %bb.973:
	global_load_i16 v0, v[4:5], off
	s_wait_loadcnt 0x0
	v_cvt_f32_i32_e32 v1, v0
.LBB15_974:
	s_cbranch_execnz .LBB15_980
.LBB15_975:
	s_sext_i32_i16 s7, s9
	s_delay_alu instid0(SALU_CYCLE_1)
	s_cmp_gt_i32 s7, 0
	s_mov_b32 s7, 0
	s_cbranch_scc0 .LBB15_977
; %bb.976:
	global_load_i8 v0, v[4:5], off
	s_wait_loadcnt 0x0
	v_cvt_f32_i32_e32 v1, v0
	s_branch .LBB15_978
.LBB15_977:
	s_mov_b32 s7, -1
                                        ; implicit-def: $vgpr1
.LBB15_978:
	s_delay_alu instid0(SALU_CYCLE_1)
	s_and_not1_b32 vcc_lo, exec_lo, s7
	s_cbranch_vccnz .LBB15_980
; %bb.979:
	global_load_u8 v0, v[4:5], off
	s_wait_loadcnt 0x0
	v_cvt_f32_ubyte0_e32 v1, v0
.LBB15_980:
	s_or_b32 s0, s0, exec_lo
.LBB15_981:
	s_wait_xcnt 0x0
	s_or_b32 exec_lo, exec_lo, s6
	s_mov_b32 s9, 0
	s_mov_b32 s8, 0
                                        ; implicit-def: $sgpr6
                                        ; implicit-def: $vgpr4_vgpr5
                                        ; implicit-def: $vgpr0
	s_and_saveexec_b32 s7, s0
	s_cbranch_execz .LBB15_991
; %bb.982:
	v_mov_b32_e32 v0, 1.0
	s_mov_b32 s0, exec_lo
	s_wait_loadcnt 0x0
	s_delay_alu instid0(VALU_DEP_2)
	v_cmpx_lt_f32_e32 s16, v1
	s_cbranch_execz .LBB15_984
; %bb.983:
	v_add_f32_e32 v0, 0x33d6bf95, v1
	s_delay_alu instid0(VALU_DEP_1) | instskip(NEXT) | instid1(VALU_DEP_1)
	v_div_scale_f32 v1, null, v0, v0, s16
	v_rcp_f32_e32 v3, v1
	v_nop
	s_delay_alu instid0(TRANS32_DEP_1) | instskip(NEXT) | instid1(VALU_DEP_1)
	v_fma_f32 v4, -v1, v3, 1.0
	v_fmac_f32_e32 v3, v4, v3
	v_div_scale_f32 v4, vcc_lo, s16, v0, s16
	s_delay_alu instid0(VALU_DEP_1) | instskip(NEXT) | instid1(VALU_DEP_1)
	v_mul_f32_e32 v5, v4, v3
	v_fma_f32 v6, -v1, v5, v4
	s_delay_alu instid0(VALU_DEP_1) | instskip(NEXT) | instid1(VALU_DEP_1)
	v_fmac_f32_e32 v5, v6, v3
	v_fma_f32 v1, -v1, v5, v4
	s_delay_alu instid0(VALU_DEP_1) | instskip(NEXT) | instid1(VALU_DEP_1)
	v_div_fmas_f32 v1, v1, v3, v5
	v_div_fixup_f32 v0, v1, v0, s16
.LBB15_984:
	s_or_b32 exec_lo, exec_lo, s0
	v_mov_b32_e32 v3, 0
	s_and_b32 s6, s17, 0xff
	s_delay_alu instid0(SALU_CYCLE_1) | instskip(NEXT) | instid1(VALU_DEP_1)
	s_cmp_lt_i32 s6, 11
	v_add_nc_u64_e32 v[4:5], s[4:5], v[2:3]
	s_cbranch_scc1 .LBB15_994
; %bb.985:
	s_and_b32 s4, 0xffff, s6
	s_mov_b32 s5, -1
	s_cmp_gt_i32 s4, 25
	s_mov_b32 s0, s40
	s_cbranch_scc0 .LBB15_1022
; %bb.986:
	s_cmp_gt_i32 s4, 28
	s_mov_b32 s0, s40
	s_cbranch_scc0 .LBB15_1006
; %bb.987:
	;; [unrolled: 4-line block ×4, first 2 shown]
	s_cmp_eq_u32 s4, 46
	s_mov_b32 s0, -1
	s_cbranch_scc0 .LBB15_995
; %bb.990:
	v_bfe_u32 v1, v0, 16, 1
	v_cmp_o_f32_e32 vcc_lo, v0, v0
	s_mov_b32 s0, 0
	s_mov_b32 s5, 0
	s_delay_alu instid0(VALU_DEP_2) | instskip(NEXT) | instid1(VALU_DEP_1)
	v_add3_u32 v1, v0, v1, 0x7fff
	v_lshrrev_b32_e32 v1, 16, v1
	s_delay_alu instid0(VALU_DEP_1)
	v_cndmask_b32_e32 v1, 0x7fc0, v1, vcc_lo
	global_store_b32 v[4:5], v1, off
	s_branch .LBB15_996
.LBB15_991:
	s_or_b32 exec_lo, exec_lo, s7
	s_and_saveexec_b32 s0, s40
	s_cbranch_execnz .LBB15_1064
.LBB15_992:
	s_or_b32 exec_lo, exec_lo, s0
	s_and_saveexec_b32 s0, s9
	s_delay_alu instid0(SALU_CYCLE_1)
	s_xor_b32 s0, exec_lo, s0
	s_cbranch_execz .LBB15_1065
.LBB15_993:
	v_cmp_neq_f32_e32 vcc_lo, 0, v0
	s_wait_loadcnt 0x0
	v_cndmask_b32_e64 v1, 0, 1, vcc_lo
	global_store_b8 v[4:5], v1, off
	s_wait_xcnt 0x0
	s_or_b32 exec_lo, exec_lo, s0
	s_and_saveexec_b32 s0, s8
	s_delay_alu instid0(SALU_CYCLE_1)
	s_xor_b32 s0, exec_lo, s0
	s_cbranch_execz .LBB15_1103
	s_branch .LBB15_1066
.LBB15_994:
	s_mov_b32 s5, -1
	s_mov_b32 s0, s40
	s_branch .LBB15_1063
.LBB15_995:
	s_mov_b32 s5, 0
.LBB15_996:
	s_delay_alu instid0(SALU_CYCLE_1)
	s_and_b32 vcc_lo, exec_lo, s5
	s_cbranch_vccz .LBB15_1001
; %bb.997:
	s_cmp_eq_u32 s4, 44
	s_mov_b32 s0, -1
	s_cbranch_scc0 .LBB15_1001
; %bb.998:
	v_bfe_u32 v2, v0, 23, 8
	s_wait_xcnt 0x0
	v_mov_b32_e32 v1, 0xff
	s_mov_b32 s5, exec_lo
	s_delay_alu instid0(VALU_DEP_2)
	v_cmpx_ne_u32_e32 0xff, v2
	s_cbranch_execz .LBB15_1000
; %bb.999:
	v_and_b32_e32 v1, 0x400000, v0
	v_and_or_b32 v2, 0x3fffff, v0, v2
	s_delay_alu instid0(VALU_DEP_2) | instskip(NEXT) | instid1(VALU_DEP_2)
	v_cmp_ne_u32_e32 vcc_lo, 0, v1
	v_cmp_ne_u32_e64 s0, 0, v2
	v_lshrrev_b32_e32 v1, 23, v0
	s_and_b32 s0, vcc_lo, s0
	s_delay_alu instid0(SALU_CYCLE_1) | instskip(NEXT) | instid1(VALU_DEP_1)
	v_cndmask_b32_e64 v2, 0, 1, s0
	v_add_nc_u32_e32 v1, v1, v2
.LBB15_1000:
	s_or_b32 exec_lo, exec_lo, s5
	s_mov_b32 s0, 0
	global_store_b8 v[4:5], v1, off
.LBB15_1001:
	s_mov_b32 s5, 0
.LBB15_1002:
	s_delay_alu instid0(SALU_CYCLE_1)
	s_and_b32 vcc_lo, exec_lo, s5
	s_cbranch_vccz .LBB15_1005
; %bb.1003:
	s_cmp_eq_u32 s4, 29
	s_mov_b32 s0, -1
	s_cbranch_scc0 .LBB15_1005
; %bb.1004:
	s_wait_xcnt 0x0
	v_trunc_f32_e32 v1, v0
	s_mov_b32 s0, 0
	s_mov_b32 s5, 0
	s_delay_alu instid0(VALU_DEP_1) | instskip(NEXT) | instid1(VALU_DEP_1)
	v_mul_f32_e32 v2, 0x2f800000, v1
	v_floor_f32_e32 v2, v2
	s_delay_alu instid0(VALU_DEP_1) | instskip(SKIP_1) | instid1(VALU_DEP_2)
	v_fmamk_f32 v1, v2, 0xcf800000, v1
	v_cvt_u32_f32_e32 v3, v2
	v_cvt_u32_f32_e32 v2, v1
	global_store_b64 v[4:5], v[2:3], off
	s_branch .LBB15_1006
.LBB15_1005:
	s_mov_b32 s5, 0
.LBB15_1006:
	s_delay_alu instid0(SALU_CYCLE_1)
	s_and_b32 vcc_lo, exec_lo, s5
	s_cbranch_vccz .LBB15_1021
; %bb.1007:
	s_cmp_lt_i32 s4, 27
	s_mov_b32 s5, -1
	s_cbranch_scc1 .LBB15_1013
; %bb.1008:
	s_cmp_gt_i32 s4, 27
	s_cbranch_scc0 .LBB15_1010
; %bb.1009:
	s_wait_xcnt 0x0
	v_cvt_u32_f32_e32 v1, v0
	s_mov_b32 s5, 0
	global_store_b32 v[4:5], v1, off
.LBB15_1010:
	s_and_not1_b32 vcc_lo, exec_lo, s5
	s_cbranch_vccnz .LBB15_1012
; %bb.1011:
	s_wait_xcnt 0x0
	v_cvt_u32_f32_e32 v1, v0
	global_store_b16 v[4:5], v1, off
.LBB15_1012:
	s_mov_b32 s5, 0
.LBB15_1013:
	s_delay_alu instid0(SALU_CYCLE_1)
	s_and_not1_b32 vcc_lo, exec_lo, s5
	s_cbranch_vccnz .LBB15_1021
; %bb.1014:
	s_wait_xcnt 0x0
	v_and_b32_e32 v1, 0x7fffffff, v0
	v_mov_b32_e32 v2, 0x80
	s_mov_b32 s5, exec_lo
	s_delay_alu instid0(VALU_DEP_2)
	v_cmpx_gt_u32_e32 0x43800000, v1
	s_cbranch_execz .LBB15_1020
; %bb.1015:
	v_cmp_lt_u32_e32 vcc_lo, 0x3bffffff, v1
                                        ; implicit-def: $vgpr1
	s_and_saveexec_b32 s9, vcc_lo
	s_delay_alu instid0(SALU_CYCLE_1)
	s_xor_b32 s9, exec_lo, s9
	s_cbranch_execz .LBB15_1178
; %bb.1016:
	v_bfe_u32 v1, v0, 20, 1
	s_mov_b32 s8, exec_lo
	s_delay_alu instid0(VALU_DEP_1) | instskip(NEXT) | instid1(VALU_DEP_1)
	v_add3_u32 v1, v0, v1, 0x487ffff
	v_lshrrev_b32_e32 v1, 20, v1
	s_and_not1_saveexec_b32 s9, s9
	s_cbranch_execnz .LBB15_1179
.LBB15_1017:
	s_or_b32 exec_lo, exec_lo, s9
	v_mov_b32_e32 v2, 0
	s_and_saveexec_b32 s9, s8
.LBB15_1018:
	v_lshrrev_b32_e32 v2, 24, v0
	s_delay_alu instid0(VALU_DEP_1)
	v_and_or_b32 v2, 0x80, v2, v1
.LBB15_1019:
	s_or_b32 exec_lo, exec_lo, s9
.LBB15_1020:
	s_delay_alu instid0(SALU_CYCLE_1)
	s_or_b32 exec_lo, exec_lo, s5
	global_store_b8 v[4:5], v2, off
.LBB15_1021:
	s_mov_b32 s5, 0
.LBB15_1022:
	s_delay_alu instid0(SALU_CYCLE_1)
	s_and_b32 vcc_lo, exec_lo, s5
	s_mov_b32 s5, 0
	s_cbranch_vccz .LBB15_1062
; %bb.1023:
	s_cmp_gt_i32 s4, 22
	s_mov_b32 s8, -1
	s_cbranch_scc0 .LBB15_1055
; %bb.1024:
	s_cmp_lt_i32 s4, 24
	s_cbranch_scc1 .LBB15_1044
; %bb.1025:
	s_cmp_gt_i32 s4, 24
	s_cbranch_scc0 .LBB15_1033
; %bb.1026:
	s_wait_xcnt 0x0
	v_and_b32_e32 v1, 0x7fffffff, v0
	v_mov_b32_e32 v2, 0x80
	s_mov_b32 s8, exec_lo
	s_delay_alu instid0(VALU_DEP_2)
	v_cmpx_gt_u32_e32 0x47800000, v1
	s_cbranch_execz .LBB15_1032
; %bb.1027:
	v_cmp_lt_u32_e32 vcc_lo, 0x37ffffff, v1
	s_mov_b32 s9, 0
                                        ; implicit-def: $vgpr1
	s_and_saveexec_b32 s10, vcc_lo
	s_delay_alu instid0(SALU_CYCLE_1)
	s_xor_b32 s10, exec_lo, s10
	s_cbranch_execz .LBB15_1306
; %bb.1028:
	v_bfe_u32 v1, v0, 21, 1
	s_mov_b32 s9, exec_lo
	s_delay_alu instid0(VALU_DEP_1) | instskip(NEXT) | instid1(VALU_DEP_1)
	v_add3_u32 v1, v0, v1, 0x88fffff
	v_lshrrev_b32_e32 v1, 21, v1
	s_and_not1_saveexec_b32 s10, s10
	s_cbranch_execnz .LBB15_1307
.LBB15_1029:
	s_or_b32 exec_lo, exec_lo, s10
	v_mov_b32_e32 v2, 0
	s_and_saveexec_b32 s10, s9
.LBB15_1030:
	v_lshrrev_b32_e32 v2, 24, v0
	s_delay_alu instid0(VALU_DEP_1)
	v_and_or_b32 v2, 0x80, v2, v1
.LBB15_1031:
	s_or_b32 exec_lo, exec_lo, s10
.LBB15_1032:
	s_delay_alu instid0(SALU_CYCLE_1)
	s_or_b32 exec_lo, exec_lo, s8
	s_mov_b32 s8, 0
	global_store_b8 v[4:5], v2, off
.LBB15_1033:
	s_and_b32 vcc_lo, exec_lo, s8
	s_cbranch_vccz .LBB15_1043
; %bb.1034:
	s_wait_xcnt 0x0
	v_and_b32_e32 v2, 0x7fffffff, v0
	s_mov_b32 s8, exec_lo
                                        ; implicit-def: $vgpr1
	s_delay_alu instid0(VALU_DEP_1)
	v_cmpx_gt_u32_e32 0x43f00000, v2
	s_xor_b32 s8, exec_lo, s8
	s_cbranch_execz .LBB15_1040
; %bb.1035:
	s_mov_b32 s9, exec_lo
                                        ; implicit-def: $vgpr1
	v_cmpx_lt_u32_e32 0x3c7fffff, v2
	s_xor_b32 s9, exec_lo, s9
; %bb.1036:
	v_bfe_u32 v1, v0, 20, 1
	s_delay_alu instid0(VALU_DEP_1) | instskip(NEXT) | instid1(VALU_DEP_1)
	v_add3_u32 v1, v0, v1, 0x407ffff
	v_and_b32_e32 v2, 0xff00000, v1
	v_lshrrev_b32_e32 v1, 20, v1
	s_delay_alu instid0(VALU_DEP_2) | instskip(NEXT) | instid1(VALU_DEP_2)
	v_cmp_ne_u32_e32 vcc_lo, 0x7f00000, v2
	v_cndmask_b32_e32 v1, 0x7e, v1, vcc_lo
; %bb.1037:
	s_and_not1_saveexec_b32 s9, s9
; %bb.1038:
	v_add_f32_e64 v1, 0x46800000, |v0|
; %bb.1039:
	s_or_b32 exec_lo, exec_lo, s9
                                        ; implicit-def: $vgpr2
.LBB15_1040:
	s_and_not1_saveexec_b32 s8, s8
; %bb.1041:
	v_mov_b32_e32 v1, 0x7f
	v_cmp_lt_u32_e32 vcc_lo, 0x7f800000, v2
	s_delay_alu instid0(VALU_DEP_2)
	v_cndmask_b32_e32 v1, 0x7e, v1, vcc_lo
; %bb.1042:
	s_or_b32 exec_lo, exec_lo, s8
	v_lshrrev_b32_e32 v2, 24, v0
	s_delay_alu instid0(VALU_DEP_1)
	v_and_or_b32 v1, 0x80, v2, v1
	global_store_b8 v[4:5], v1, off
.LBB15_1043:
	s_mov_b32 s8, 0
.LBB15_1044:
	s_delay_alu instid0(SALU_CYCLE_1)
	s_and_not1_b32 vcc_lo, exec_lo, s8
	s_cbranch_vccnz .LBB15_1054
; %bb.1045:
	s_wait_xcnt 0x0
	v_and_b32_e32 v2, 0x7fffffff, v0
	s_mov_b32 s8, exec_lo
                                        ; implicit-def: $vgpr1
	s_delay_alu instid0(VALU_DEP_1)
	v_cmpx_gt_u32_e32 0x47800000, v2
	s_xor_b32 s8, exec_lo, s8
	s_cbranch_execz .LBB15_1051
; %bb.1046:
	s_mov_b32 s9, exec_lo
                                        ; implicit-def: $vgpr1
	v_cmpx_lt_u32_e32 0x387fffff, v2
	s_xor_b32 s9, exec_lo, s9
; %bb.1047:
	v_bfe_u32 v1, v0, 21, 1
	s_delay_alu instid0(VALU_DEP_1) | instskip(NEXT) | instid1(VALU_DEP_1)
	v_add3_u32 v1, v0, v1, 0x80fffff
	v_lshrrev_b32_e32 v1, 21, v1
; %bb.1048:
	s_and_not1_saveexec_b32 s9, s9
; %bb.1049:
	v_add_f32_e64 v1, 0x43000000, |v0|
; %bb.1050:
	s_or_b32 exec_lo, exec_lo, s9
                                        ; implicit-def: $vgpr2
.LBB15_1051:
	s_and_not1_saveexec_b32 s8, s8
; %bb.1052:
	v_mov_b32_e32 v1, 0x7f
	v_cmp_lt_u32_e32 vcc_lo, 0x7f800000, v2
	s_delay_alu instid0(VALU_DEP_2)
	v_cndmask_b32_e32 v1, 0x7c, v1, vcc_lo
; %bb.1053:
	s_or_b32 exec_lo, exec_lo, s8
	v_lshrrev_b32_e32 v2, 24, v0
	s_delay_alu instid0(VALU_DEP_1)
	v_and_or_b32 v1, 0x80, v2, v1
	global_store_b8 v[4:5], v1, off
.LBB15_1054:
	s_mov_b32 s8, 0
.LBB15_1055:
	s_delay_alu instid0(SALU_CYCLE_1)
	s_and_not1_b32 vcc_lo, exec_lo, s8
	s_mov_b32 s9, 0
	s_cbranch_vccnz .LBB15_1063
; %bb.1056:
	s_cmp_gt_i32 s4, 14
	s_mov_b32 s8, -1
	s_cbranch_scc0 .LBB15_1060
; %bb.1057:
	s_cmp_eq_u32 s4, 15
	s_mov_b32 s0, -1
	s_cbranch_scc0 .LBB15_1059
; %bb.1058:
	s_wait_xcnt 0x0
	v_bfe_u32 v1, v0, 16, 1
	v_cmp_o_f32_e32 vcc_lo, v0, v0
	s_mov_b32 s0, 0
	s_delay_alu instid0(VALU_DEP_2) | instskip(NEXT) | instid1(VALU_DEP_1)
	v_add3_u32 v1, v0, v1, 0x7fff
	v_lshrrev_b32_e32 v1, 16, v1
	s_delay_alu instid0(VALU_DEP_1)
	v_cndmask_b32_e32 v1, 0x7fc0, v1, vcc_lo
	global_store_b16 v[4:5], v1, off
.LBB15_1059:
	s_mov_b32 s8, 0
.LBB15_1060:
	s_delay_alu instid0(SALU_CYCLE_1)
	s_and_b32 vcc_lo, exec_lo, s8
	s_cbranch_vccz .LBB15_1063
; %bb.1061:
	s_cmp_lg_u32 s4, 11
	s_mov_b32 s9, -1
	s_cselect_b32 s4, -1, 0
	s_and_not1_b32 s0, s0, exec_lo
	s_and_b32 s4, s4, exec_lo
	s_delay_alu instid0(SALU_CYCLE_1)
	s_or_b32 s0, s0, s4
	s_branch .LBB15_1063
.LBB15_1062:
	s_mov_b32 s9, 0
.LBB15_1063:
	s_and_not1_b32 s4, s40, exec_lo
	s_and_b32 s0, s0, exec_lo
	s_and_b32 s8, s5, exec_lo
	;; [unrolled: 1-line block ×3, first 2 shown]
	s_or_b32 s40, s4, s0
	s_wait_xcnt 0x0
	s_or_b32 exec_lo, exec_lo, s7
	s_and_saveexec_b32 s0, s40
	s_cbranch_execz .LBB15_992
.LBB15_1064:
	s_or_b32 s1, s1, exec_lo
	s_and_not1_b32 s9, s9, exec_lo
	s_trap 2
	s_or_b32 exec_lo, exec_lo, s0
	s_and_saveexec_b32 s0, s9
	s_delay_alu instid0(SALU_CYCLE_1)
	s_xor_b32 s0, exec_lo, s0
	s_cbranch_execnz .LBB15_993
.LBB15_1065:
	s_or_b32 exec_lo, exec_lo, s0
	s_and_saveexec_b32 s0, s8
	s_delay_alu instid0(SALU_CYCLE_1)
	s_xor_b32 s0, exec_lo, s0
	s_cbranch_execz .LBB15_1103
.LBB15_1066:
	s_sext_i32_i16 s5, s6
	s_mov_b32 s4, -1
	s_cmp_lt_i32 s5, 5
	s_cbranch_scc1 .LBB15_1087
; %bb.1067:
	s_cmp_lt_i32 s5, 8
	s_cbranch_scc1 .LBB15_1077
; %bb.1068:
	;; [unrolled: 3-line block ×3, first 2 shown]
	s_cmp_gt_i32 s5, 9
	s_cbranch_scc0 .LBB15_1071
; %bb.1070:
	v_cvt_f64_f32_e32 v[6:7], v0
	v_mov_b32_e32 v8, 0
	s_mov_b32 s4, 0
	s_delay_alu instid0(VALU_DEP_1)
	v_mov_b32_e32 v9, v8
	global_store_b128 v[4:5], v[6:9], off
.LBB15_1071:
	s_and_not1_b32 vcc_lo, exec_lo, s4
	s_cbranch_vccnz .LBB15_1073
; %bb.1072:
	s_wait_loadcnt 0x0
	v_mov_b32_e32 v1, 0
	global_store_b64 v[4:5], v[0:1], off
.LBB15_1073:
	s_mov_b32 s4, 0
.LBB15_1074:
	s_delay_alu instid0(SALU_CYCLE_1)
	s_and_not1_b32 vcc_lo, exec_lo, s4
	s_cbranch_vccnz .LBB15_1076
; %bb.1075:
	s_wait_loadcnt 0x0
	v_cvt_f16_f32_e32 v1, v0
	s_delay_alu instid0(VALU_DEP_1)
	v_and_b32_e32 v1, 0xffff, v1
	global_store_b32 v[4:5], v1, off
.LBB15_1076:
	s_mov_b32 s4, 0
.LBB15_1077:
	s_delay_alu instid0(SALU_CYCLE_1)
	s_and_not1_b32 vcc_lo, exec_lo, s4
	s_cbranch_vccnz .LBB15_1086
; %bb.1078:
	s_sext_i32_i16 s5, s6
	s_mov_b32 s4, -1
	s_cmp_lt_i32 s5, 6
	s_cbranch_scc1 .LBB15_1084
; %bb.1079:
	s_cmp_gt_i32 s5, 6
	s_cbranch_scc0 .LBB15_1081
; %bb.1080:
	v_cvt_f64_f32_e32 v[2:3], v0
	s_mov_b32 s4, 0
	global_store_b64 v[4:5], v[2:3], off
.LBB15_1081:
	s_and_not1_b32 vcc_lo, exec_lo, s4
	s_cbranch_vccnz .LBB15_1083
; %bb.1082:
	global_store_b32 v[4:5], v0, off
.LBB15_1083:
	s_mov_b32 s4, 0
.LBB15_1084:
	s_delay_alu instid0(SALU_CYCLE_1)
	s_and_not1_b32 vcc_lo, exec_lo, s4
	s_cbranch_vccnz .LBB15_1086
; %bb.1085:
	s_wait_loadcnt 0x0
	v_cvt_f16_f32_e32 v1, v0
	global_store_b16 v[4:5], v1, off
.LBB15_1086:
	s_mov_b32 s4, 0
.LBB15_1087:
	s_delay_alu instid0(SALU_CYCLE_1)
	s_and_not1_b32 vcc_lo, exec_lo, s4
	s_cbranch_vccnz .LBB15_1103
; %bb.1088:
	s_sext_i32_i16 s5, s6
	s_mov_b32 s4, -1
	s_cmp_lt_i32 s5, 2
	s_cbranch_scc1 .LBB15_1098
; %bb.1089:
	s_cmp_lt_i32 s5, 3
	s_cbranch_scc1 .LBB15_1095
; %bb.1090:
	s_cmp_gt_i32 s5, 3
	s_cbranch_scc0 .LBB15_1092
; %bb.1091:
	s_wait_loadcnt 0x0
	v_trunc_f32_e32 v1, v0
	s_mov_b32 s4, 0
	s_delay_alu instid0(VALU_DEP_1) | instskip(NEXT) | instid1(VALU_DEP_1)
	v_mul_f32_e64 v2, 0x2f800000, |v1|
	v_floor_f32_e32 v3, v2
	v_ashrrev_i32_e32 v2, 31, v1
	s_delay_alu instid0(VALU_DEP_2) | instskip(SKIP_1) | instid1(VALU_DEP_3)
	v_fma_f32 v6, 0xcf800000, v3, |v1|
	v_cvt_u32_f32_e32 v1, v3
	v_mov_b32_e32 v3, v2
	s_delay_alu instid0(VALU_DEP_3) | instskip(NEXT) | instid1(VALU_DEP_3)
	v_cvt_u32_f32_e32 v6, v6
	v_xor_b32_e32 v7, v1, v2
	s_delay_alu instid0(VALU_DEP_2) | instskip(NEXT) | instid1(VALU_DEP_1)
	v_xor_b32_e32 v6, v6, v2
	v_sub_nc_u64_e32 v[2:3], v[6:7], v[2:3]
	global_store_b64 v[4:5], v[2:3], off
.LBB15_1092:
	s_and_not1_b32 vcc_lo, exec_lo, s4
	s_cbranch_vccnz .LBB15_1094
; %bb.1093:
	s_wait_loadcnt 0x0
	v_cvt_i32_f32_e32 v1, v0
	global_store_b32 v[4:5], v1, off
.LBB15_1094:
	s_mov_b32 s4, 0
.LBB15_1095:
	s_delay_alu instid0(SALU_CYCLE_1)
	s_and_not1_b32 vcc_lo, exec_lo, s4
	s_cbranch_vccnz .LBB15_1097
; %bb.1096:
	s_wait_loadcnt 0x0
	v_cvt_i32_f32_e32 v1, v0
	global_store_b16 v[4:5], v1, off
.LBB15_1097:
	s_mov_b32 s4, 0
.LBB15_1098:
	s_delay_alu instid0(SALU_CYCLE_1)
	s_and_not1_b32 vcc_lo, exec_lo, s4
	s_cbranch_vccnz .LBB15_1103
; %bb.1099:
	s_sext_i32_i16 s4, s6
	s_delay_alu instid0(SALU_CYCLE_1)
	s_cmp_gt_i32 s4, 0
	s_mov_b32 s4, -1
	s_cbranch_scc0 .LBB15_1101
; %bb.1100:
	s_wait_loadcnt 0x0
	v_cvt_i32_f32_e32 v1, v0
	s_mov_b32 s4, 0
	global_store_b8 v[4:5], v1, off
.LBB15_1101:
	s_and_not1_b32 vcc_lo, exec_lo, s4
	s_cbranch_vccnz .LBB15_1103
; %bb.1102:
	s_wait_xcnt 0x0
	v_trunc_f32_e32 v0, v0
	s_wait_loadcnt 0x0
	s_delay_alu instid0(VALU_DEP_1) | instskip(NEXT) | instid1(VALU_DEP_1)
	v_mul_f32_e64 v1, 0x2f800000, |v0|
	v_floor_f32_e32 v1, v1
	s_delay_alu instid0(VALU_DEP_1) | instskip(SKIP_1) | instid1(VALU_DEP_2)
	v_fma_f32 v1, 0xcf800000, v1, |v0|
	v_ashrrev_i32_e32 v0, 31, v0
	v_cvt_u32_f32_e32 v1, v1
	s_delay_alu instid0(VALU_DEP_1) | instskip(NEXT) | instid1(VALU_DEP_1)
	v_xor_b32_e32 v1, v1, v0
	v_sub_nc_u32_e32 v0, v1, v0
	global_store_b8 v[4:5], v0, off
.LBB15_1103:
	s_wait_xcnt 0x0
	s_or_b32 exec_lo, exec_lo, s0
	s_delay_alu instid0(SALU_CYCLE_1)
	s_and_b32 s8, s1, exec_lo
                                        ; implicit-def: $vgpr9
                                        ; implicit-def: $vgpr0
.LBB15_1104:
	s_or_saveexec_b32 s9, s35
	s_mov_b32 s0, 0
                                        ; implicit-def: $vgpr2_vgpr3
                                        ; implicit-def: $sgpr6
                                        ; implicit-def: $vgpr8
	s_xor_b32 exec_lo, exec_lo, s9
	s_cbranch_execz .LBB15_1769
; %bb.1105:
	s_wait_loadcnt 0x0
	v_cndmask_b32_e64 v1, 0, 1, s34
	s_and_not1_b32 vcc_lo, exec_lo, s34
	s_cbranch_vccnz .LBB15_1111
; %bb.1106:
	s_cmp_lg_u32 s30, 0
	s_mov_b32 s10, 0
	s_cbranch_scc0 .LBB15_1112
; %bb.1107:
	s_min_u32 s1, s31, 15
	s_delay_alu instid0(SALU_CYCLE_1)
	s_add_co_i32 s1, s1, 1
	s_cmp_eq_u32 s31, 2
	s_cbranch_scc1 .LBB15_1113
; %bb.1108:
	v_dual_mov_b32 v6, 0 :: v_dual_mov_b32 v10, 0
	v_mov_b32_e32 v2, v0
	s_and_b32 s0, s1, 28
	s_add_nc_u64 s[4:5], s[2:3], 0xc4
	s_mov_b32 s11, 0
	s_mov_b64 s[6:7], s[2:3]
.LBB15_1109:                            ; =>This Inner Loop Header: Depth=1
	s_clause 0x1
	s_load_b256 s[12:19], s[6:7], 0x4
	s_load_b128 s[36:39], s[6:7], 0x24
	s_load_b256 s[20:27], s[4:5], 0x0
	s_add_co_i32 s11, s11, 4
	s_wait_xcnt 0x0
	s_add_nc_u64 s[6:7], s[6:7], 48
	s_cmp_lg_u32 s0, s11
	s_add_nc_u64 s[4:5], s[4:5], 32
	s_wait_kmcnt 0x0
	v_mul_hi_u32 v3, s13, v2
	s_delay_alu instid0(VALU_DEP_1) | instskip(NEXT) | instid1(VALU_DEP_1)
	v_add_nc_u32_e32 v3, v2, v3
	v_lshrrev_b32_e32 v3, s14, v3
	s_delay_alu instid0(VALU_DEP_1) | instskip(NEXT) | instid1(VALU_DEP_1)
	v_mul_hi_u32 v4, s16, v3
	v_add_nc_u32_e32 v4, v3, v4
	s_delay_alu instid0(VALU_DEP_1) | instskip(NEXT) | instid1(VALU_DEP_1)
	v_lshrrev_b32_e32 v4, s17, v4
	v_mul_hi_u32 v5, s19, v4
	s_delay_alu instid0(VALU_DEP_1) | instskip(SKIP_1) | instid1(VALU_DEP_1)
	v_add_nc_u32_e32 v5, v4, v5
	v_mul_lo_u32 v7, v3, s12
	v_sub_nc_u32_e32 v2, v2, v7
	v_mul_lo_u32 v7, v4, s15
	s_delay_alu instid0(VALU_DEP_4) | instskip(NEXT) | instid1(VALU_DEP_3)
	v_lshrrev_b32_e32 v5, s36, v5
	v_mad_u32 v10, v2, s21, v10
	v_mad_u32 v2, v2, s20, v6
	s_delay_alu instid0(VALU_DEP_4) | instskip(NEXT) | instid1(VALU_DEP_4)
	v_sub_nc_u32_e32 v3, v3, v7
	v_mul_hi_u32 v8, s38, v5
	v_mul_lo_u32 v6, v5, s18
	s_delay_alu instid0(VALU_DEP_1) | instskip(NEXT) | instid1(VALU_DEP_4)
	v_dual_add_nc_u32 v7, v5, v8 :: v_dual_sub_nc_u32 v4, v4, v6
	v_mad_u32 v8, v3, s23, v10
	v_mad_u32 v3, v3, s22, v2
	s_delay_alu instid0(VALU_DEP_3) | instskip(NEXT) | instid1(VALU_DEP_1)
	v_lshrrev_b32_e32 v2, s39, v7
	v_mul_lo_u32 v6, v2, s37
	s_delay_alu instid0(VALU_DEP_4) | instskip(NEXT) | instid1(VALU_DEP_4)
	v_mad_u32 v7, v4, s25, v8
	v_mad_u32 v3, v4, s24, v3
	s_delay_alu instid0(VALU_DEP_3) | instskip(NEXT) | instid1(VALU_DEP_1)
	v_sub_nc_u32_e32 v4, v5, v6
	v_mad_u32 v10, v4, s27, v7
	s_delay_alu instid0(VALU_DEP_3)
	v_mad_u32 v6, v4, s26, v3
	s_cbranch_scc1 .LBB15_1109
; %bb.1110:
	s_delay_alu instid0(VALU_DEP_2)
	v_mov_b32_e32 v7, v10
	s_and_b32 s6, s1, 3
	s_mov_b32 s1, 0
	s_cmp_eq_u32 s6, 0
	s_cbranch_scc0 .LBB15_1114
	s_branch .LBB15_1117
.LBB15_1111:
	s_mov_b32 s10, -1
                                        ; implicit-def: $vgpr10
                                        ; implicit-def: $vgpr6
	s_branch .LBB15_1117
.LBB15_1112:
	v_dual_mov_b32 v10, 0 :: v_dual_mov_b32 v6, 0
	s_branch .LBB15_1117
.LBB15_1113:
	v_mov_b64_e32 v[6:7], 0
	v_mov_b32_e32 v2, v0
                                        ; implicit-def: $vgpr10
	s_and_b32 s6, s1, 3
	s_mov_b32 s1, 0
	s_cmp_eq_u32 s6, 0
	s_cbranch_scc1 .LBB15_1117
.LBB15_1114:
	s_lshl_b32 s4, s0, 3
	s_mov_b32 s5, s1
	s_mul_u64 s[12:13], s[0:1], 12
	s_add_nc_u64 s[4:5], s[2:3], s[4:5]
	s_delay_alu instid0(SALU_CYCLE_1)
	s_add_nc_u64 s[0:1], s[4:5], 0xc4
	s_add_nc_u64 s[4:5], s[2:3], s[12:13]
.LBB15_1115:                            ; =>This Inner Loop Header: Depth=1
	s_load_b96 s[12:14], s[4:5], 0x4
	s_add_co_i32 s6, s6, -1
	s_wait_xcnt 0x0
	s_add_nc_u64 s[4:5], s[4:5], 12
	s_cmp_lg_u32 s6, 0
	s_wait_kmcnt 0x0
	v_mul_hi_u32 v3, s13, v2
	s_delay_alu instid0(VALU_DEP_1) | instskip(NEXT) | instid1(VALU_DEP_1)
	v_add_nc_u32_e32 v3, v2, v3
	v_lshrrev_b32_e32 v3, s14, v3
	s_load_b64 s[14:15], s[0:1], 0x0
	s_wait_xcnt 0x0
	s_add_nc_u64 s[0:1], s[0:1], 8
	s_delay_alu instid0(VALU_DEP_1) | instskip(NEXT) | instid1(VALU_DEP_1)
	v_mul_lo_u32 v4, v3, s12
	v_sub_nc_u32_e32 v2, v2, v4
	s_wait_kmcnt 0x0
	s_delay_alu instid0(VALU_DEP_1)
	v_mad_u32 v7, v2, s15, v7
	v_mad_u32 v6, v2, s14, v6
	v_mov_b32_e32 v2, v3
	s_cbranch_scc1 .LBB15_1115
; %bb.1116:
	s_delay_alu instid0(VALU_DEP_3)
	v_mov_b32_e32 v10, v7
.LBB15_1117:
	s_and_not1_b32 vcc_lo, exec_lo, s10
	s_cbranch_vccnz .LBB15_1120
; %bb.1118:
	s_clause 0x1
	s_load_b96 s[4:6], s[2:3], 0x4
	s_load_b64 s[0:1], s[2:3], 0xc4
	s_cmp_lt_u32 s30, 2
	s_wait_kmcnt 0x0
	v_mul_hi_u32 v2, s5, v0
	s_delay_alu instid0(VALU_DEP_1) | instskip(NEXT) | instid1(VALU_DEP_1)
	v_add_nc_u32_e32 v2, v0, v2
	v_lshrrev_b32_e32 v2, s6, v2
	s_delay_alu instid0(VALU_DEP_1) | instskip(NEXT) | instid1(VALU_DEP_1)
	v_mul_lo_u32 v3, v2, s4
	v_sub_nc_u32_e32 v3, v0, v3
	s_delay_alu instid0(VALU_DEP_1)
	v_mul_lo_u32 v10, v3, s1
	v_mul_lo_u32 v6, v3, s0
	s_cbranch_scc1 .LBB15_1120
; %bb.1119:
	s_clause 0x1
	s_load_b96 s[4:6], s[2:3], 0x10
	s_load_b64 s[0:1], s[2:3], 0xcc
	s_wait_kmcnt 0x0
	v_mul_hi_u32 v3, s5, v2
	s_delay_alu instid0(VALU_DEP_1) | instskip(NEXT) | instid1(VALU_DEP_1)
	v_add_nc_u32_e32 v3, v2, v3
	v_lshrrev_b32_e32 v3, s6, v3
	s_delay_alu instid0(VALU_DEP_1) | instskip(NEXT) | instid1(VALU_DEP_1)
	v_mul_lo_u32 v3, v3, s4
	v_sub_nc_u32_e32 v2, v2, v3
	s_delay_alu instid0(VALU_DEP_1)
	v_mad_u32 v6, v2, s0, v6
	v_mad_u32 v10, v2, s1, v10
.LBB15_1120:
	v_cmp_ne_u32_e32 vcc_lo, 1, v1
	v_add_nc_u32_e32 v2, 0x80, v0
	s_cbranch_vccnz .LBB15_1126
; %bb.1121:
	s_cmp_lg_u32 s30, 0
	s_mov_b32 s10, 0
	s_cbranch_scc0 .LBB15_1127
; %bb.1122:
	s_min_u32 s1, s31, 15
	s_delay_alu instid0(SALU_CYCLE_1)
	s_add_co_i32 s1, s1, 1
	s_cmp_eq_u32 s31, 2
	s_cbranch_scc1 .LBB15_1128
; %bb.1123:
	v_dual_mov_b32 v4, 0 :: v_dual_mov_b32 v12, 0
	v_mov_b32_e32 v3, v2
	s_and_b32 s0, s1, 28
	s_add_nc_u64 s[4:5], s[2:3], 0xc4
	s_mov_b32 s11, 0
	s_mov_b64 s[6:7], s[2:3]
.LBB15_1124:                            ; =>This Inner Loop Header: Depth=1
	s_clause 0x1
	s_load_b256 s[12:19], s[6:7], 0x4
	s_load_b128 s[36:39], s[6:7], 0x24
	s_load_b256 s[20:27], s[4:5], 0x0
	s_add_co_i32 s11, s11, 4
	s_wait_xcnt 0x0
	s_add_nc_u64 s[6:7], s[6:7], 48
	s_cmp_lg_u32 s0, s11
	s_add_nc_u64 s[4:5], s[4:5], 32
	s_wait_kmcnt 0x0
	v_mul_hi_u32 v5, s13, v3
	s_delay_alu instid0(VALU_DEP_1) | instskip(NEXT) | instid1(VALU_DEP_1)
	v_add_nc_u32_e32 v5, v3, v5
	v_lshrrev_b32_e32 v5, s14, v5
	s_delay_alu instid0(VALU_DEP_1) | instskip(NEXT) | instid1(VALU_DEP_1)
	v_mul_hi_u32 v7, s16, v5
	v_add_nc_u32_e32 v7, v5, v7
	s_delay_alu instid0(VALU_DEP_1) | instskip(NEXT) | instid1(VALU_DEP_1)
	v_lshrrev_b32_e32 v7, s17, v7
	v_mul_hi_u32 v8, s19, v7
	s_delay_alu instid0(VALU_DEP_1) | instskip(SKIP_1) | instid1(VALU_DEP_2)
	v_add_nc_u32_e32 v8, v7, v8
	v_mul_lo_u32 v11, v5, s12
	v_lshrrev_b32_e32 v8, s36, v8
	s_delay_alu instid0(VALU_DEP_1) | instskip(NEXT) | instid1(VALU_DEP_3)
	v_mul_hi_u32 v13, s38, v8
	v_sub_nc_u32_e32 v3, v3, v11
	v_mul_lo_u32 v11, v7, s15
	s_delay_alu instid0(VALU_DEP_2) | instskip(SKIP_1) | instid1(VALU_DEP_3)
	v_mad_u32 v12, v3, s21, v12
	v_mad_u32 v3, v3, s20, v4
	v_sub_nc_u32_e32 v4, v5, v11
	v_mul_lo_u32 v5, v8, s18
	v_add_nc_u32_e32 v11, v8, v13
	s_delay_alu instid0(VALU_DEP_3) | instskip(SKIP_1) | instid1(VALU_DEP_3)
	v_mad_u32 v12, v4, s23, v12
	v_mad_u32 v4, v4, s22, v3
	v_dual_lshrrev_b32 v3, s39, v11 :: v_dual_sub_nc_u32 v5, v7, v5
	s_delay_alu instid0(VALU_DEP_1) | instskip(NEXT) | instid1(VALU_DEP_2)
	v_mul_lo_u32 v7, v3, s37
	v_mad_u32 v11, v5, s25, v12
	s_delay_alu instid0(VALU_DEP_4) | instskip(NEXT) | instid1(VALU_DEP_3)
	v_mad_u32 v4, v5, s24, v4
	v_sub_nc_u32_e32 v5, v8, v7
	s_delay_alu instid0(VALU_DEP_1) | instskip(NEXT) | instid1(VALU_DEP_3)
	v_mad_u32 v12, v5, s27, v11
	v_mad_u32 v4, v5, s26, v4
	s_cbranch_scc1 .LBB15_1124
; %bb.1125:
	s_delay_alu instid0(VALU_DEP_2)
	v_mov_b32_e32 v5, v12
	s_and_b32 s6, s1, 3
	s_mov_b32 s1, 0
	s_cmp_eq_u32 s6, 0
	s_cbranch_scc0 .LBB15_1129
	s_branch .LBB15_1132
.LBB15_1126:
	s_mov_b32 s10, -1
                                        ; implicit-def: $vgpr12
                                        ; implicit-def: $vgpr4
	s_branch .LBB15_1132
.LBB15_1127:
	v_dual_mov_b32 v12, 0 :: v_dual_mov_b32 v4, 0
	s_branch .LBB15_1132
.LBB15_1128:
	v_mov_b64_e32 v[4:5], 0
	v_mov_b32_e32 v3, v2
	s_mov_b32 s0, 0
                                        ; implicit-def: $vgpr12
	s_and_b32 s6, s1, 3
	s_mov_b32 s1, 0
	s_cmp_eq_u32 s6, 0
	s_cbranch_scc1 .LBB15_1132
.LBB15_1129:
	s_lshl_b32 s4, s0, 3
	s_mov_b32 s5, s1
	s_mul_u64 s[12:13], s[0:1], 12
	s_add_nc_u64 s[4:5], s[2:3], s[4:5]
	s_delay_alu instid0(SALU_CYCLE_1)
	s_add_nc_u64 s[0:1], s[4:5], 0xc4
	s_add_nc_u64 s[4:5], s[2:3], s[12:13]
.LBB15_1130:                            ; =>This Inner Loop Header: Depth=1
	s_load_b96 s[12:14], s[4:5], 0x4
	s_add_co_i32 s6, s6, -1
	s_wait_xcnt 0x0
	s_add_nc_u64 s[4:5], s[4:5], 12
	s_cmp_lg_u32 s6, 0
	s_wait_kmcnt 0x0
	v_mul_hi_u32 v7, s13, v3
	s_delay_alu instid0(VALU_DEP_1) | instskip(NEXT) | instid1(VALU_DEP_1)
	v_add_nc_u32_e32 v7, v3, v7
	v_lshrrev_b32_e32 v7, s14, v7
	s_load_b64 s[14:15], s[0:1], 0x0
	s_wait_xcnt 0x0
	s_add_nc_u64 s[0:1], s[0:1], 8
	s_delay_alu instid0(VALU_DEP_1) | instskip(NEXT) | instid1(VALU_DEP_1)
	v_mul_lo_u32 v8, v7, s12
	v_sub_nc_u32_e32 v3, v3, v8
	s_wait_kmcnt 0x0
	s_delay_alu instid0(VALU_DEP_1)
	v_mad_u32 v5, v3, s15, v5
	v_mad_u32 v4, v3, s14, v4
	v_mov_b32_e32 v3, v7
	s_cbranch_scc1 .LBB15_1130
; %bb.1131:
	s_delay_alu instid0(VALU_DEP_3)
	v_mov_b32_e32 v12, v5
.LBB15_1132:
	s_and_not1_b32 vcc_lo, exec_lo, s10
	s_cbranch_vccnz .LBB15_1135
; %bb.1133:
	s_clause 0x1
	s_load_b96 s[4:6], s[2:3], 0x4
	s_load_b64 s[0:1], s[2:3], 0xc4
	s_cmp_lt_u32 s30, 2
	s_wait_kmcnt 0x0
	v_mul_hi_u32 v3, s5, v2
	s_delay_alu instid0(VALU_DEP_1) | instskip(NEXT) | instid1(VALU_DEP_1)
	v_add_nc_u32_e32 v3, v2, v3
	v_lshrrev_b32_e32 v3, s6, v3
	s_delay_alu instid0(VALU_DEP_1) | instskip(NEXT) | instid1(VALU_DEP_1)
	v_mul_lo_u32 v4, v3, s4
	v_sub_nc_u32_e32 v2, v2, v4
	s_delay_alu instid0(VALU_DEP_1)
	v_mul_lo_u32 v12, v2, s1
	v_mul_lo_u32 v4, v2, s0
	s_cbranch_scc1 .LBB15_1135
; %bb.1134:
	s_clause 0x1
	s_load_b96 s[4:6], s[2:3], 0x10
	s_load_b64 s[0:1], s[2:3], 0xcc
	s_wait_kmcnt 0x0
	v_mul_hi_u32 v2, s5, v3
	s_delay_alu instid0(VALU_DEP_1) | instskip(NEXT) | instid1(VALU_DEP_1)
	v_add_nc_u32_e32 v2, v3, v2
	v_lshrrev_b32_e32 v2, s6, v2
	s_delay_alu instid0(VALU_DEP_1) | instskip(NEXT) | instid1(VALU_DEP_1)
	v_mul_lo_u32 v2, v2, s4
	v_sub_nc_u32_e32 v2, v3, v2
	s_delay_alu instid0(VALU_DEP_1)
	v_mad_u32 v4, v2, s0, v4
	v_mad_u32 v12, v2, s1, v12
.LBB15_1135:
	v_cmp_ne_u32_e32 vcc_lo, 1, v1
	v_add_nc_u32_e32 v0, 0x100, v0
	s_cbranch_vccnz .LBB15_1141
; %bb.1136:
	s_cmp_lg_u32 s30, 0
	s_mov_b32 s10, 0
	s_cbranch_scc0 .LBB15_1142
; %bb.1137:
	s_min_u32 s1, s31, 15
	s_delay_alu instid0(SALU_CYCLE_1)
	s_add_co_i32 s1, s1, 1
	s_cmp_eq_u32 s31, 2
	s_cbranch_scc1 .LBB15_1143
; %bb.1138:
	v_dual_mov_b32 v2, 0 :: v_dual_mov_b32 v14, 0
	v_mov_b32_e32 v5, v0
	s_and_b32 s0, s1, 28
	s_add_nc_u64 s[4:5], s[2:3], 0xc4
	s_mov_b32 s11, 0
	s_mov_b64 s[6:7], s[2:3]
.LBB15_1139:                            ; =>This Inner Loop Header: Depth=1
	s_clause 0x1
	s_load_b256 s[12:19], s[6:7], 0x4
	s_load_b128 s[36:39], s[6:7], 0x24
	s_load_b256 s[20:27], s[4:5], 0x0
	s_add_co_i32 s11, s11, 4
	s_wait_xcnt 0x0
	s_add_nc_u64 s[6:7], s[6:7], 48
	s_cmp_lg_u32 s0, s11
	s_add_nc_u64 s[4:5], s[4:5], 32
	s_wait_kmcnt 0x0
	v_mul_hi_u32 v3, s13, v5
	s_delay_alu instid0(VALU_DEP_1) | instskip(NEXT) | instid1(VALU_DEP_1)
	v_add_nc_u32_e32 v3, v5, v3
	v_lshrrev_b32_e32 v3, s14, v3
	s_delay_alu instid0(VALU_DEP_1) | instskip(NEXT) | instid1(VALU_DEP_1)
	v_mul_hi_u32 v7, s16, v3
	v_add_nc_u32_e32 v7, v3, v7
	s_delay_alu instid0(VALU_DEP_1) | instskip(NEXT) | instid1(VALU_DEP_1)
	v_lshrrev_b32_e32 v7, s17, v7
	v_mul_hi_u32 v8, s19, v7
	s_delay_alu instid0(VALU_DEP_1) | instskip(NEXT) | instid1(VALU_DEP_1)
	v_add_nc_u32_e32 v8, v7, v8
	v_lshrrev_b32_e32 v8, s36, v8
	v_mul_lo_u32 v11, v3, s12
	s_delay_alu instid0(VALU_DEP_2) | instskip(NEXT) | instid1(VALU_DEP_2)
	v_mul_hi_u32 v13, s38, v8
	v_sub_nc_u32_e32 v5, v5, v11
	s_delay_alu instid0(VALU_DEP_1) | instskip(SKIP_1) | instid1(VALU_DEP_4)
	v_mad_u32 v14, v5, s21, v14
	v_mad_u32 v2, v5, s20, v2
	v_add_nc_u32_e32 v5, v8, v13
	s_delay_alu instid0(VALU_DEP_1) | instskip(SKIP_1) | instid1(VALU_DEP_1)
	v_lshrrev_b32_e32 v5, s39, v5
	v_mul_lo_u32 v11, v7, s15
	v_sub_nc_u32_e32 v3, v3, v11
	v_mul_lo_u32 v11, v8, s18
	s_delay_alu instid0(VALU_DEP_2) | instskip(SKIP_1) | instid1(VALU_DEP_3)
	v_mad_u32 v13, v3, s23, v14
	v_mad_u32 v2, v3, s22, v2
	v_sub_nc_u32_e32 v3, v7, v11
	v_mul_lo_u32 v7, v5, s37
	s_delay_alu instid0(VALU_DEP_2) | instskip(NEXT) | instid1(VALU_DEP_4)
	v_mad_u32 v11, v3, s25, v13
	v_mad_u32 v2, v3, s24, v2
	s_delay_alu instid0(VALU_DEP_3) | instskip(NEXT) | instid1(VALU_DEP_1)
	v_sub_nc_u32_e32 v3, v8, v7
	v_mad_u32 v14, v3, s27, v11
	s_delay_alu instid0(VALU_DEP_3)
	v_mad_u32 v2, v3, s26, v2
	s_cbranch_scc1 .LBB15_1139
; %bb.1140:
	s_delay_alu instid0(VALU_DEP_2)
	v_mov_b32_e32 v3, v14
	s_and_b32 s6, s1, 3
	s_mov_b32 s1, 0
	s_cmp_eq_u32 s6, 0
	s_cbranch_scc0 .LBB15_1144
	s_branch .LBB15_1147
.LBB15_1141:
	s_mov_b32 s10, -1
                                        ; implicit-def: $vgpr14
                                        ; implicit-def: $vgpr2
	s_branch .LBB15_1147
.LBB15_1142:
	v_dual_mov_b32 v14, 0 :: v_dual_mov_b32 v2, 0
	s_branch .LBB15_1147
.LBB15_1143:
	v_mov_b64_e32 v[2:3], 0
	v_mov_b32_e32 v5, v0
	s_mov_b32 s0, 0
                                        ; implicit-def: $vgpr14
	s_and_b32 s6, s1, 3
	s_mov_b32 s1, 0
	s_cmp_eq_u32 s6, 0
	s_cbranch_scc1 .LBB15_1147
.LBB15_1144:
	s_lshl_b32 s4, s0, 3
	s_mov_b32 s5, s1
	s_mul_u64 s[12:13], s[0:1], 12
	s_add_nc_u64 s[4:5], s[2:3], s[4:5]
	s_delay_alu instid0(SALU_CYCLE_1)
	s_add_nc_u64 s[0:1], s[4:5], 0xc4
	s_add_nc_u64 s[4:5], s[2:3], s[12:13]
.LBB15_1145:                            ; =>This Inner Loop Header: Depth=1
	s_load_b96 s[12:14], s[4:5], 0x4
	s_add_co_i32 s6, s6, -1
	s_wait_xcnt 0x0
	s_add_nc_u64 s[4:5], s[4:5], 12
	s_cmp_lg_u32 s6, 0
	s_wait_kmcnt 0x0
	v_mul_hi_u32 v7, s13, v5
	s_delay_alu instid0(VALU_DEP_1) | instskip(NEXT) | instid1(VALU_DEP_1)
	v_add_nc_u32_e32 v7, v5, v7
	v_lshrrev_b32_e32 v7, s14, v7
	s_load_b64 s[14:15], s[0:1], 0x0
	s_wait_xcnt 0x0
	s_add_nc_u64 s[0:1], s[0:1], 8
	s_delay_alu instid0(VALU_DEP_1) | instskip(NEXT) | instid1(VALU_DEP_1)
	v_mul_lo_u32 v8, v7, s12
	v_sub_nc_u32_e32 v5, v5, v8
	s_wait_kmcnt 0x0
	s_delay_alu instid0(VALU_DEP_1)
	v_mad_u32 v3, v5, s15, v3
	v_mad_u32 v2, v5, s14, v2
	v_mov_b32_e32 v5, v7
	s_cbranch_scc1 .LBB15_1145
; %bb.1146:
	s_delay_alu instid0(VALU_DEP_3)
	v_mov_b32_e32 v14, v3
.LBB15_1147:
	s_and_not1_b32 vcc_lo, exec_lo, s10
	s_cbranch_vccnz .LBB15_1150
; %bb.1148:
	s_clause 0x1
	s_load_b96 s[4:6], s[2:3], 0x4
	s_load_b64 s[0:1], s[2:3], 0xc4
	s_cmp_lt_u32 s30, 2
	s_wait_kmcnt 0x0
	v_mul_hi_u32 v2, s5, v0
	s_delay_alu instid0(VALU_DEP_1) | instskip(NEXT) | instid1(VALU_DEP_1)
	v_add_nc_u32_e32 v2, v0, v2
	v_lshrrev_b32_e32 v3, s6, v2
	s_delay_alu instid0(VALU_DEP_1) | instskip(NEXT) | instid1(VALU_DEP_1)
	v_mul_lo_u32 v2, v3, s4
	v_sub_nc_u32_e32 v0, v0, v2
	s_delay_alu instid0(VALU_DEP_1)
	v_mul_lo_u32 v14, v0, s1
	v_mul_lo_u32 v2, v0, s0
	s_cbranch_scc1 .LBB15_1150
; %bb.1149:
	s_clause 0x1
	s_load_b96 s[4:6], s[2:3], 0x10
	s_load_b64 s[0:1], s[2:3], 0xcc
	s_wait_kmcnt 0x0
	v_mul_hi_u32 v0, s5, v3
	s_delay_alu instid0(VALU_DEP_1) | instskip(NEXT) | instid1(VALU_DEP_1)
	v_add_nc_u32_e32 v0, v3, v0
	v_lshrrev_b32_e32 v0, s6, v0
	s_delay_alu instid0(VALU_DEP_1) | instskip(NEXT) | instid1(VALU_DEP_1)
	v_mul_lo_u32 v0, v0, s4
	v_sub_nc_u32_e32 v0, v3, v0
	s_delay_alu instid0(VALU_DEP_1)
	v_mad_u32 v2, v0, s0, v2
	v_mad_u32 v14, v0, s1, v14
.LBB15_1150:
	v_cmp_ne_u32_e32 vcc_lo, 1, v1
	s_cbranch_vccnz .LBB15_1156
; %bb.1151:
	s_cmp_lg_u32 s30, 0
	s_mov_b32 s10, 0
	s_cbranch_scc0 .LBB15_1157
; %bb.1152:
	s_min_u32 s1, s31, 15
	s_delay_alu instid0(SALU_CYCLE_1)
	s_add_co_i32 s1, s1, 1
	s_cmp_eq_u32 s31, 2
	s_cbranch_scc1 .LBB15_1158
; %bb.1153:
	v_dual_mov_b32 v0, 0 :: v_dual_mov_b32 v8, 0
	v_mov_b32_e32 v3, v9
	s_and_b32 s0, s1, 28
	s_add_nc_u64 s[4:5], s[2:3], 0xc4
	s_mov_b32 s11, 0
	s_mov_b64 s[6:7], s[2:3]
.LBB15_1154:                            ; =>This Inner Loop Header: Depth=1
	s_clause 0x1
	s_load_b256 s[12:19], s[6:7], 0x4
	s_load_b128 s[36:39], s[6:7], 0x24
	s_load_b256 s[20:27], s[4:5], 0x0
	s_add_co_i32 s11, s11, 4
	s_wait_xcnt 0x0
	s_add_nc_u64 s[6:7], s[6:7], 48
	s_cmp_lg_u32 s0, s11
	s_add_nc_u64 s[4:5], s[4:5], 32
	s_wait_kmcnt 0x0
	v_mul_hi_u32 v1, s13, v3
	s_delay_alu instid0(VALU_DEP_1) | instskip(NEXT) | instid1(VALU_DEP_1)
	v_add_nc_u32_e32 v1, v3, v1
	v_lshrrev_b32_e32 v1, s14, v1
	s_delay_alu instid0(VALU_DEP_1) | instskip(NEXT) | instid1(VALU_DEP_1)
	v_mul_lo_u32 v11, v1, s12
	v_sub_nc_u32_e32 v3, v3, v11
	v_mul_hi_u32 v5, s16, v1
	s_delay_alu instid0(VALU_DEP_2) | instskip(SKIP_1) | instid1(VALU_DEP_3)
	v_mad_u32 v8, v3, s21, v8
	v_mad_u32 v0, v3, s20, v0
	v_add_nc_u32_e32 v5, v1, v5
	s_delay_alu instid0(VALU_DEP_1) | instskip(NEXT) | instid1(VALU_DEP_1)
	v_lshrrev_b32_e32 v5, s17, v5
	v_mul_lo_u32 v11, v5, s15
	s_delay_alu instid0(VALU_DEP_1) | instskip(SKIP_1) | instid1(VALU_DEP_2)
	v_sub_nc_u32_e32 v1, v1, v11
	v_mul_hi_u32 v7, s19, v5
	v_mad_u32 v8, v1, s23, v8
	v_mad_u32 v0, v1, s22, v0
	s_delay_alu instid0(VALU_DEP_3) | instskip(NEXT) | instid1(VALU_DEP_1)
	v_add_nc_u32_e32 v7, v5, v7
	v_lshrrev_b32_e32 v7, s36, v7
	s_delay_alu instid0(VALU_DEP_1) | instskip(SKIP_1) | instid1(VALU_DEP_1)
	v_mul_hi_u32 v13, s38, v7
	v_mul_lo_u32 v11, v7, s18
	v_dual_add_nc_u32 v3, v7, v13 :: v_dual_sub_nc_u32 v1, v5, v11
	s_delay_alu instid0(VALU_DEP_1) | instskip(NEXT) | instid1(VALU_DEP_2)
	v_lshrrev_b32_e32 v3, s39, v3
	v_mad_u32 v8, v1, s25, v8
	v_mad_u32 v0, v1, s24, v0
	s_delay_alu instid0(VALU_DEP_3) | instskip(NEXT) | instid1(VALU_DEP_1)
	v_mul_lo_u32 v5, v3, s37
	v_sub_nc_u32_e32 v1, v7, v5
	s_delay_alu instid0(VALU_DEP_1) | instskip(NEXT) | instid1(VALU_DEP_4)
	v_mad_u32 v8, v1, s27, v8
	v_mad_u32 v0, v1, s26, v0
	s_cbranch_scc1 .LBB15_1154
; %bb.1155:
	s_delay_alu instid0(VALU_DEP_2)
	v_mov_b32_e32 v1, v8
	s_and_b32 s6, s1, 3
	s_mov_b32 s1, 0
	s_cmp_eq_u32 s6, 0
	s_cbranch_scc0 .LBB15_1159
	s_branch .LBB15_1162
.LBB15_1156:
	s_mov_b32 s10, -1
                                        ; implicit-def: $vgpr8
                                        ; implicit-def: $vgpr0
	s_branch .LBB15_1162
.LBB15_1157:
	v_dual_mov_b32 v8, 0 :: v_dual_mov_b32 v0, 0
	s_branch .LBB15_1162
.LBB15_1158:
	v_mov_b64_e32 v[0:1], 0
	v_mov_b32_e32 v3, v9
	s_mov_b32 s0, 0
                                        ; implicit-def: $vgpr8
	s_and_b32 s6, s1, 3
	s_mov_b32 s1, 0
	s_cmp_eq_u32 s6, 0
	s_cbranch_scc1 .LBB15_1162
.LBB15_1159:
	s_lshl_b32 s4, s0, 3
	s_mov_b32 s5, s1
	s_mul_u64 s[12:13], s[0:1], 12
	s_add_nc_u64 s[4:5], s[2:3], s[4:5]
	s_delay_alu instid0(SALU_CYCLE_1)
	s_add_nc_u64 s[0:1], s[4:5], 0xc4
	s_add_nc_u64 s[4:5], s[2:3], s[12:13]
.LBB15_1160:                            ; =>This Inner Loop Header: Depth=1
	s_load_b96 s[12:14], s[4:5], 0x4
	s_add_co_i32 s6, s6, -1
	s_wait_xcnt 0x0
	s_add_nc_u64 s[4:5], s[4:5], 12
	s_cmp_lg_u32 s6, 0
	s_wait_kmcnt 0x0
	v_mul_hi_u32 v5, s13, v3
	s_delay_alu instid0(VALU_DEP_1) | instskip(NEXT) | instid1(VALU_DEP_1)
	v_add_nc_u32_e32 v5, v3, v5
	v_lshrrev_b32_e32 v5, s14, v5
	s_load_b64 s[14:15], s[0:1], 0x0
	s_wait_xcnt 0x0
	s_add_nc_u64 s[0:1], s[0:1], 8
	s_delay_alu instid0(VALU_DEP_1) | instskip(NEXT) | instid1(VALU_DEP_1)
	v_mul_lo_u32 v7, v5, s12
	v_sub_nc_u32_e32 v3, v3, v7
	s_wait_kmcnt 0x0
	s_delay_alu instid0(VALU_DEP_1)
	v_mad_u32 v1, v3, s15, v1
	v_mad_u32 v0, v3, s14, v0
	v_mov_b32_e32 v3, v5
	s_cbranch_scc1 .LBB15_1160
; %bb.1161:
	s_delay_alu instid0(VALU_DEP_3)
	v_mov_b32_e32 v8, v1
.LBB15_1162:
	s_and_not1_b32 vcc_lo, exec_lo, s10
	s_cbranch_vccnz .LBB15_1165
; %bb.1163:
	s_clause 0x1
	s_load_b96 s[4:6], s[2:3], 0x4
	s_load_b64 s[0:1], s[2:3], 0xc4
	s_cmp_lt_u32 s30, 2
	s_wait_kmcnt 0x0
	v_mul_hi_u32 v0, s5, v9
	s_delay_alu instid0(VALU_DEP_1) | instskip(NEXT) | instid1(VALU_DEP_1)
	v_add_nc_u32_e32 v0, v9, v0
	v_lshrrev_b32_e32 v1, s6, v0
	s_delay_alu instid0(VALU_DEP_1) | instskip(NEXT) | instid1(VALU_DEP_1)
	v_mul_lo_u32 v0, v1, s4
	v_sub_nc_u32_e32 v0, v9, v0
	s_delay_alu instid0(VALU_DEP_1)
	v_mul_lo_u32 v8, v0, s1
	v_mul_lo_u32 v0, v0, s0
	s_cbranch_scc1 .LBB15_1165
; %bb.1164:
	s_clause 0x1
	s_load_b96 s[4:6], s[2:3], 0x10
	s_load_b64 s[0:1], s[2:3], 0xcc
	s_wait_kmcnt 0x0
	v_mul_hi_u32 v3, s5, v1
	s_delay_alu instid0(VALU_DEP_1) | instskip(NEXT) | instid1(VALU_DEP_1)
	v_add_nc_u32_e32 v3, v1, v3
	v_lshrrev_b32_e32 v3, s6, v3
	s_delay_alu instid0(VALU_DEP_1) | instskip(NEXT) | instid1(VALU_DEP_1)
	v_mul_lo_u32 v3, v3, s4
	v_sub_nc_u32_e32 v1, v1, v3
	s_delay_alu instid0(VALU_DEP_1)
	v_mad_u32 v0, v1, s0, v0
	v_mad_u32 v8, v1, s1, v8
.LBB15_1165:
	v_mov_b32_e32 v11, 0
	s_load_b128 s[4:7], s[2:3], 0x148
	global_load_u8 v1, v11, s[2:3] offset:349
	s_wait_kmcnt 0x0
	v_add_nc_u64_e32 v[10:11], s[6:7], v[10:11]
	s_wait_loadcnt 0x0
	v_and_b32_e32 v3, 0xffff, v1
	v_readfirstlane_b32 s10, v1
	s_delay_alu instid0(VALU_DEP_2)
	v_cmp_gt_i32_e32 vcc_lo, 11, v3
	s_cbranch_vccnz .LBB15_1172
; %bb.1166:
	s_and_b32 s0, 0xffff, s10
	s_mov_b32 s11, 0
	s_cmp_gt_i32 s0, 25
	s_cbranch_scc0 .LBB15_1174
; %bb.1167:
	s_cmp_gt_i32 s0, 28
	s_cbranch_scc0 .LBB15_1175
; %bb.1168:
	s_cmp_gt_i32 s0, 43
	s_cbranch_scc0 .LBB15_1176
; %bb.1169:
	s_cmp_gt_i32 s0, 45
	s_cbranch_scc0 .LBB15_1177
; %bb.1170:
	s_cmp_eq_u32 s0, 46
	s_mov_b32 s13, 0
	s_cbranch_scc0 .LBB15_1180
; %bb.1171:
	global_load_b32 v1, v[10:11], off
	s_mov_b32 s1, 0
	s_mov_b32 s12, -1
	s_wait_loadcnt 0x0
	v_lshlrev_b32_e32 v1, 16, v1
	s_branch .LBB15_1182
.LBB15_1172:
	s_mov_b32 s12, 0
	s_mov_b32 s1, s8
                                        ; implicit-def: $vgpr1
	s_cbranch_execnz .LBB15_1245
.LBB15_1173:
	s_and_not1_b32 vcc_lo, exec_lo, s12
	s_cbranch_vccz .LBB15_1290
	s_branch .LBB15_1767
.LBB15_1174:
	s_mov_b32 s12, 0
	s_mov_b32 s1, 0
                                        ; implicit-def: $vgpr1
	s_cbranch_execnz .LBB15_1210
	s_branch .LBB15_1241
.LBB15_1175:
	s_mov_b32 s13, -1
	s_mov_b32 s12, 0
	s_mov_b32 s1, 0
                                        ; implicit-def: $vgpr1
	s_branch .LBB15_1191
.LBB15_1176:
	s_mov_b32 s12, 0
	s_mov_b32 s1, 0
                                        ; implicit-def: $vgpr1
	s_cbranch_execnz .LBB15_1187
	s_branch .LBB15_1190
.LBB15_1177:
	s_mov_b32 s13, -1
	s_mov_b32 s12, 0
	s_mov_b32 s1, 0
	s_branch .LBB15_1181
.LBB15_1178:
	s_and_not1_saveexec_b32 s9, s9
	s_cbranch_execz .LBB15_1017
.LBB15_1179:
	v_add_f32_e64 v1, 0x46000000, |v0|
	s_and_not1_b32 s8, s8, exec_lo
	s_delay_alu instid0(VALU_DEP_1) | instskip(NEXT) | instid1(VALU_DEP_1)
	v_and_b32_e32 v1, 0xff, v1
	v_cmp_ne_u32_e32 vcc_lo, 0, v1
	s_and_b32 s10, vcc_lo, exec_lo
	s_delay_alu instid0(SALU_CYCLE_1)
	s_or_b32 s8, s8, s10
	s_or_b32 exec_lo, exec_lo, s9
	v_mov_b32_e32 v2, 0
	s_and_saveexec_b32 s9, s8
	s_cbranch_execnz .LBB15_1018
	s_branch .LBB15_1019
.LBB15_1180:
	s_mov_b32 s1, -1
	s_mov_b32 s12, 0
.LBB15_1181:
                                        ; implicit-def: $vgpr1
.LBB15_1182:
	s_and_b32 vcc_lo, exec_lo, s13
	s_cbranch_vccz .LBB15_1185
; %bb.1183:
	s_cmp_eq_u32 s0, 44
	s_cbranch_scc0 .LBB15_1186
; %bb.1184:
	global_load_u8 v1, v[10:11], off
	s_mov_b32 s1, 0
	s_mov_b32 s12, -1
	s_wait_loadcnt 0x0
	v_lshlrev_b32_e32 v3, 23, v1
	v_cmp_ne_u32_e32 vcc_lo, 0xff, v1
	s_delay_alu instid0(VALU_DEP_2) | instskip(SKIP_1) | instid1(VALU_DEP_2)
	v_cndmask_b32_e32 v3, 0x7f800001, v3, vcc_lo
	v_cmp_ne_u32_e32 vcc_lo, 0, v1
	v_cndmask_b32_e32 v1, 0x400000, v3, vcc_lo
.LBB15_1185:
	s_branch .LBB15_1190
.LBB15_1186:
	s_mov_b32 s1, -1
                                        ; implicit-def: $vgpr1
	s_branch .LBB15_1190
.LBB15_1187:
	s_cmp_eq_u32 s0, 29
	s_cbranch_scc0 .LBB15_1189
; %bb.1188:
	global_load_b64 v[16:17], v[10:11], off
	s_mov_b32 s1, 0
	s_mov_b32 s12, -1
	s_mov_b32 s13, 0
	s_wait_loadcnt 0x0
	v_clz_i32_u32_e32 v1, v17
	s_delay_alu instid0(VALU_DEP_1) | instskip(NEXT) | instid1(VALU_DEP_1)
	v_min_u32_e32 v1, 32, v1
	v_lshlrev_b64_e32 v[16:17], v1, v[16:17]
	v_sub_nc_u32_e32 v1, 32, v1
	s_delay_alu instid0(VALU_DEP_2) | instskip(NEXT) | instid1(VALU_DEP_1)
	v_min_u32_e32 v3, 1, v16
	v_or_b32_e32 v3, v17, v3
	s_delay_alu instid0(VALU_DEP_1) | instskip(NEXT) | instid1(VALU_DEP_1)
	v_cvt_f32_u32_e32 v3, v3
	v_ldexp_f32 v1, v3, v1
	s_branch .LBB15_1191
.LBB15_1189:
	s_mov_b32 s1, -1
                                        ; implicit-def: $vgpr1
.LBB15_1190:
	s_mov_b32 s13, 0
.LBB15_1191:
	s_delay_alu instid0(SALU_CYCLE_1)
	s_and_b32 vcc_lo, exec_lo, s13
	s_cbranch_vccz .LBB15_1209
; %bb.1192:
	s_cmp_lt_i32 s0, 27
	s_cbranch_scc1 .LBB15_1195
; %bb.1193:
	s_cmp_gt_i32 s0, 27
	s_cbranch_scc0 .LBB15_1196
; %bb.1194:
	global_load_b32 v1, v[10:11], off
	s_mov_b32 s12, 0
	s_wait_loadcnt 0x0
	v_cvt_f32_u32_e32 v1, v1
	s_branch .LBB15_1197
.LBB15_1195:
	s_mov_b32 s12, -1
                                        ; implicit-def: $vgpr1
	s_branch .LBB15_1200
.LBB15_1196:
	s_mov_b32 s12, -1
                                        ; implicit-def: $vgpr1
.LBB15_1197:
	s_delay_alu instid0(SALU_CYCLE_1)
	s_and_not1_b32 vcc_lo, exec_lo, s12
	s_cbranch_vccnz .LBB15_1199
; %bb.1198:
	global_load_u16 v1, v[10:11], off
	s_wait_loadcnt 0x0
	v_cvt_f32_u32_e32 v1, v1
.LBB15_1199:
	s_mov_b32 s12, 0
.LBB15_1200:
	s_delay_alu instid0(SALU_CYCLE_1)
	s_and_not1_b32 vcc_lo, exec_lo, s12
	s_cbranch_vccnz .LBB15_1208
; %bb.1201:
	global_load_u8 v3, v[10:11], off
	s_mov_b32 s12, 0
	s_mov_b32 s13, exec_lo
	s_wait_loadcnt 0x0
	v_cmpx_lt_i16_e32 0x7f, v3
	s_xor_b32 s13, exec_lo, s13
	s_cbranch_execz .LBB15_1221
; %bb.1202:
	s_mov_b32 s12, -1
	s_mov_b32 s14, exec_lo
	v_cmpx_eq_u16_e32 0x80, v3
; %bb.1203:
	s_xor_b32 s12, exec_lo, -1
; %bb.1204:
	s_or_b32 exec_lo, exec_lo, s14
	s_delay_alu instid0(SALU_CYCLE_1)
	s_and_b32 s12, s12, exec_lo
	s_or_saveexec_b32 s13, s13
	v_mov_b32_e32 v1, 0x7f800001
	s_xor_b32 exec_lo, exec_lo, s13
	s_cbranch_execnz .LBB15_1222
.LBB15_1205:
	s_or_b32 exec_lo, exec_lo, s13
	s_and_saveexec_b32 s13, s12
	s_cbranch_execz .LBB15_1207
.LBB15_1206:
	v_and_b32_e32 v1, 0xffff, v3
	s_delay_alu instid0(VALU_DEP_1) | instskip(SKIP_1) | instid1(VALU_DEP_2)
	v_and_b32_e32 v5, 7, v1
	v_bfe_u32 v13, v1, 3, 4
	v_clz_i32_u32_e32 v7, v5
	s_delay_alu instid0(VALU_DEP_2) | instskip(NEXT) | instid1(VALU_DEP_2)
	v_cmp_eq_u32_e32 vcc_lo, 0, v13
	v_min_u32_e32 v7, 32, v7
	s_delay_alu instid0(VALU_DEP_1) | instskip(NEXT) | instid1(VALU_DEP_1)
	v_subrev_nc_u32_e32 v9, 28, v7
	v_dual_lshlrev_b32 v1, v9, v1 :: v_dual_sub_nc_u32 v7, 29, v7
	s_delay_alu instid0(VALU_DEP_1) | instskip(NEXT) | instid1(VALU_DEP_1)
	v_dual_lshlrev_b32 v3, 24, v3 :: v_dual_bitop2_b32 v1, 7, v1 bitop3:0x40
	v_cndmask_b32_e32 v1, v5, v1, vcc_lo
	s_delay_alu instid0(VALU_DEP_3) | instskip(NEXT) | instid1(VALU_DEP_3)
	v_cndmask_b32_e32 v7, v13, v7, vcc_lo
	v_and_b32_e32 v3, 0x80000000, v3
	s_delay_alu instid0(VALU_DEP_3) | instskip(NEXT) | instid1(VALU_DEP_3)
	v_lshlrev_b32_e32 v1, 20, v1
	v_lshl_add_u32 v5, v7, 23, 0x3b800000
	s_delay_alu instid0(VALU_DEP_1)
	v_or3_b32 v1, v3, v5, v1
.LBB15_1207:
	s_or_b32 exec_lo, exec_lo, s13
.LBB15_1208:
	s_mov_b32 s12, -1
.LBB15_1209:
	s_branch .LBB15_1241
.LBB15_1210:
	s_cmp_gt_i32 s0, 22
	s_cbranch_scc0 .LBB15_1220
; %bb.1211:
	s_cmp_lt_i32 s0, 24
	s_cbranch_scc1 .LBB15_1223
; %bb.1212:
	s_cmp_gt_i32 s0, 24
	s_cbranch_scc0 .LBB15_1224
; %bb.1213:
	global_load_u8 v3, v[10:11], off
	s_mov_b32 s12, exec_lo
	s_wait_loadcnt 0x0
	v_cmpx_lt_i16_e32 0x7f, v3
	s_xor_b32 s12, exec_lo, s12
	s_cbranch_execz .LBB15_1235
; %bb.1214:
	s_mov_b32 s11, -1
	s_mov_b32 s13, exec_lo
	v_cmpx_eq_u16_e32 0x80, v3
; %bb.1215:
	s_xor_b32 s11, exec_lo, -1
; %bb.1216:
	s_or_b32 exec_lo, exec_lo, s13
	s_delay_alu instid0(SALU_CYCLE_1)
	s_and_b32 s11, s11, exec_lo
	s_or_saveexec_b32 s12, s12
	v_mov_b32_e32 v1, 0x7f800001
	s_xor_b32 exec_lo, exec_lo, s12
	s_cbranch_execnz .LBB15_1236
.LBB15_1217:
	s_or_b32 exec_lo, exec_lo, s12
	s_and_saveexec_b32 s12, s11
	s_cbranch_execz .LBB15_1219
.LBB15_1218:
	v_and_b32_e32 v1, 0xffff, v3
	s_delay_alu instid0(VALU_DEP_1) | instskip(SKIP_1) | instid1(VALU_DEP_2)
	v_and_b32_e32 v5, 3, v1
	v_bfe_u32 v13, v1, 2, 5
	v_clz_i32_u32_e32 v7, v5
	s_delay_alu instid0(VALU_DEP_2) | instskip(NEXT) | instid1(VALU_DEP_2)
	v_cmp_eq_u32_e32 vcc_lo, 0, v13
	v_min_u32_e32 v7, 32, v7
	s_delay_alu instid0(VALU_DEP_1) | instskip(NEXT) | instid1(VALU_DEP_1)
	v_subrev_nc_u32_e32 v9, 29, v7
	v_dual_lshlrev_b32 v1, v9, v1 :: v_dual_sub_nc_u32 v7, 30, v7
	s_delay_alu instid0(VALU_DEP_1) | instskip(NEXT) | instid1(VALU_DEP_1)
	v_dual_lshlrev_b32 v3, 24, v3 :: v_dual_bitop2_b32 v1, 3, v1 bitop3:0x40
	v_cndmask_b32_e32 v1, v5, v1, vcc_lo
	s_delay_alu instid0(VALU_DEP_3) | instskip(NEXT) | instid1(VALU_DEP_3)
	v_cndmask_b32_e32 v7, v13, v7, vcc_lo
	v_and_b32_e32 v3, 0x80000000, v3
	s_delay_alu instid0(VALU_DEP_3) | instskip(NEXT) | instid1(VALU_DEP_3)
	v_lshlrev_b32_e32 v1, 21, v1
	v_lshl_add_u32 v5, v7, 23, 0x37800000
	s_delay_alu instid0(VALU_DEP_1)
	v_or3_b32 v1, v3, v5, v1
.LBB15_1219:
	s_or_b32 exec_lo, exec_lo, s12
	s_mov_b32 s11, 0
	s_branch .LBB15_1225
.LBB15_1220:
                                        ; implicit-def: $vgpr1
	s_mov_b32 s11, 0
	s_branch .LBB15_1231
.LBB15_1221:
	s_or_saveexec_b32 s13, s13
	v_mov_b32_e32 v1, 0x7f800001
	s_xor_b32 exec_lo, exec_lo, s13
	s_cbranch_execz .LBB15_1205
.LBB15_1222:
	v_cmp_ne_u16_e32 vcc_lo, 0, v3
	v_mov_b32_e32 v1, 0
	s_and_not1_b32 s12, s12, exec_lo
	s_and_b32 s14, vcc_lo, exec_lo
	s_delay_alu instid0(SALU_CYCLE_1)
	s_or_b32 s12, s12, s14
	s_or_b32 exec_lo, exec_lo, s13
	s_and_saveexec_b32 s13, s12
	s_cbranch_execnz .LBB15_1206
	s_branch .LBB15_1207
.LBB15_1223:
	s_mov_b32 s11, -1
                                        ; implicit-def: $vgpr1
	s_branch .LBB15_1228
.LBB15_1224:
	s_mov_b32 s11, -1
                                        ; implicit-def: $vgpr1
.LBB15_1225:
	s_delay_alu instid0(SALU_CYCLE_1)
	s_and_b32 vcc_lo, exec_lo, s11
	s_cbranch_vccz .LBB15_1227
; %bb.1226:
	global_load_u8 v1, v[10:11], off
	s_wait_loadcnt 0x0
	v_lshlrev_b32_e32 v1, 24, v1
	s_delay_alu instid0(VALU_DEP_1) | instskip(NEXT) | instid1(VALU_DEP_1)
	v_and_b32_e32 v3, 0x7f000000, v1
	v_clz_i32_u32_e32 v5, v3
	v_add_nc_u32_e32 v9, 0x1000000, v3
	v_cmp_ne_u32_e32 vcc_lo, 0, v3
	s_delay_alu instid0(VALU_DEP_3) | instskip(NEXT) | instid1(VALU_DEP_1)
	v_min_u32_e32 v5, 32, v5
	v_sub_nc_u32_e64 v5, v5, 4 clamp
	s_delay_alu instid0(VALU_DEP_1) | instskip(NEXT) | instid1(VALU_DEP_1)
	v_dual_lshlrev_b32 v7, v5, v3 :: v_dual_lshlrev_b32 v5, 23, v5
	v_lshrrev_b32_e32 v7, 4, v7
	s_delay_alu instid0(VALU_DEP_1) | instskip(SKIP_1) | instid1(VALU_DEP_2)
	v_sub_nc_u32_e32 v5, v7, v5
	v_ashrrev_i32_e32 v7, 8, v9
	v_add_nc_u32_e32 v5, 0x3c000000, v5
	s_delay_alu instid0(VALU_DEP_1) | instskip(NEXT) | instid1(VALU_DEP_1)
	v_and_or_b32 v5, 0x7f800000, v7, v5
	v_cndmask_b32_e32 v3, 0, v5, vcc_lo
	s_delay_alu instid0(VALU_DEP_1)
	v_and_or_b32 v1, 0x80000000, v1, v3
.LBB15_1227:
	s_mov_b32 s11, 0
.LBB15_1228:
	s_delay_alu instid0(SALU_CYCLE_1)
	s_and_not1_b32 vcc_lo, exec_lo, s11
	s_cbranch_vccnz .LBB15_1230
; %bb.1229:
	global_load_u8 v1, v[10:11], off
	s_wait_loadcnt 0x0
	v_lshlrev_b32_e32 v3, 25, v1
	v_lshlrev_b16 v1, 8, v1
	s_delay_alu instid0(VALU_DEP_1) | instskip(SKIP_1) | instid1(VALU_DEP_2)
	v_and_or_b32 v7, 0x7f00, v1, 0.5
	v_bfe_i32 v1, v1, 0, 16
	v_add_f32_e32 v7, -0.5, v7
	v_lshrrev_b32_e32 v5, 4, v3
	v_cmp_gt_u32_e32 vcc_lo, 0x8000000, v3
	s_delay_alu instid0(VALU_DEP_2) | instskip(NEXT) | instid1(VALU_DEP_1)
	v_or_b32_e32 v5, 0x70000000, v5
	v_mul_f32_e32 v5, 0x7800000, v5
	s_delay_alu instid0(VALU_DEP_1) | instskip(NEXT) | instid1(VALU_DEP_1)
	v_cndmask_b32_e32 v3, v5, v7, vcc_lo
	v_and_or_b32 v1, 0x80000000, v1, v3
.LBB15_1230:
	s_mov_b32 s12, -1
	s_mov_b32 s11, 0
	s_cbranch_execnz .LBB15_1241
.LBB15_1231:
	s_cmp_gt_i32 s0, 14
	s_cbranch_scc0 .LBB15_1234
; %bb.1232:
	s_cmp_eq_u32 s0, 15
	s_cbranch_scc0 .LBB15_1237
; %bb.1233:
	global_load_u16 v1, v[10:11], off
	s_mov_b32 s1, 0
	s_mov_b32 s12, -1
	s_wait_loadcnt 0x0
	v_lshlrev_b32_e32 v1, 16, v1
	s_branch .LBB15_1239
.LBB15_1234:
	s_mov_b32 s11, -1
	s_branch .LBB15_1238
.LBB15_1235:
	s_or_saveexec_b32 s12, s12
	v_mov_b32_e32 v1, 0x7f800001
	s_xor_b32 exec_lo, exec_lo, s12
	s_cbranch_execz .LBB15_1217
.LBB15_1236:
	v_cmp_ne_u16_e32 vcc_lo, 0, v3
	v_mov_b32_e32 v1, 0
	s_and_not1_b32 s11, s11, exec_lo
	s_and_b32 s13, vcc_lo, exec_lo
	s_delay_alu instid0(SALU_CYCLE_1)
	s_or_b32 s11, s11, s13
	s_or_b32 exec_lo, exec_lo, s12
	s_and_saveexec_b32 s12, s11
	s_cbranch_execnz .LBB15_1218
	s_branch .LBB15_1219
.LBB15_1237:
	s_mov_b32 s1, -1
.LBB15_1238:
                                        ; implicit-def: $vgpr1
.LBB15_1239:
	s_and_b32 vcc_lo, exec_lo, s11
	s_mov_b32 s11, 0
	s_cbranch_vccz .LBB15_1241
; %bb.1240:
	s_cmp_lg_u32 s0, 11
	s_mov_b32 s11, -1
	s_cselect_b32 s1, -1, 0
.LBB15_1241:
	s_delay_alu instid0(SALU_CYCLE_1)
	s_and_b32 vcc_lo, exec_lo, s1
	s_mov_b32 s1, s8
	s_cbranch_vccnz .LBB15_1304
; %bb.1242:
	s_and_not1_b32 vcc_lo, exec_lo, s11
	s_cbranch_vccnz .LBB15_1244
.LBB15_1243:
	global_load_u8 v1, v[10:11], off
	s_mov_b32 s12, -1
	s_wait_loadcnt 0x0
	v_cmp_ne_u16_e32 vcc_lo, 0, v1
	v_cndmask_b32_e64 v1, 0, 1.0, vcc_lo
.LBB15_1244:
	s_branch .LBB15_1173
.LBB15_1245:
	s_and_b32 s0, 0xffff, s10
	s_delay_alu instid0(SALU_CYCLE_1)
	s_cmp_lt_i32 s0, 5
	s_cbranch_scc1 .LBB15_1250
; %bb.1246:
	s_cmp_lt_i32 s0, 8
	s_cbranch_scc1 .LBB15_1251
; %bb.1247:
	;; [unrolled: 3-line block ×3, first 2 shown]
	s_cmp_gt_i32 s0, 9
	s_cbranch_scc0 .LBB15_1253
; %bb.1249:
	global_load_b64 v[16:17], v[10:11], off
	s_mov_b32 s11, 0
	s_wait_loadcnt 0x0
	v_cvt_f32_f64_e32 v1, v[16:17]
	s_branch .LBB15_1254
.LBB15_1250:
                                        ; implicit-def: $vgpr1
	s_branch .LBB15_1271
.LBB15_1251:
                                        ; implicit-def: $vgpr1
	s_branch .LBB15_1260
.LBB15_1252:
	s_mov_b32 s11, -1
                                        ; implicit-def: $vgpr1
	s_branch .LBB15_1257
.LBB15_1253:
	s_mov_b32 s11, -1
                                        ; implicit-def: $vgpr1
.LBB15_1254:
	s_delay_alu instid0(SALU_CYCLE_1)
	s_and_not1_b32 vcc_lo, exec_lo, s11
	s_cbranch_vccnz .LBB15_1256
; %bb.1255:
	global_load_b32 v1, v[10:11], off
.LBB15_1256:
	s_mov_b32 s11, 0
.LBB15_1257:
	s_delay_alu instid0(SALU_CYCLE_1)
	s_and_not1_b32 vcc_lo, exec_lo, s11
	s_cbranch_vccnz .LBB15_1259
; %bb.1258:
	s_wait_loadcnt 0x0
	global_load_b32 v1, v[10:11], off
	s_wait_loadcnt 0x0
	v_cvt_f32_f16_e32 v1, v1
.LBB15_1259:
	s_cbranch_execnz .LBB15_1270
.LBB15_1260:
	s_cmp_lt_i32 s0, 6
	s_cbranch_scc1 .LBB15_1263
; %bb.1261:
	s_cmp_gt_i32 s0, 6
	s_cbranch_scc0 .LBB15_1264
; %bb.1262:
	global_load_b64 v[16:17], v[10:11], off
	s_mov_b32 s11, 0
	s_wait_loadcnt 0x0
	v_cvt_f32_f64_e32 v1, v[16:17]
	s_branch .LBB15_1265
.LBB15_1263:
	s_mov_b32 s11, -1
                                        ; implicit-def: $vgpr1
	s_branch .LBB15_1268
.LBB15_1264:
	s_mov_b32 s11, -1
                                        ; implicit-def: $vgpr1
.LBB15_1265:
	s_delay_alu instid0(SALU_CYCLE_1)
	s_and_not1_b32 vcc_lo, exec_lo, s11
	s_cbranch_vccnz .LBB15_1267
; %bb.1266:
	s_wait_loadcnt 0x0
	global_load_b32 v1, v[10:11], off
.LBB15_1267:
	s_mov_b32 s11, 0
.LBB15_1268:
	s_delay_alu instid0(SALU_CYCLE_1)
	s_and_not1_b32 vcc_lo, exec_lo, s11
	s_cbranch_vccnz .LBB15_1270
; %bb.1269:
	s_wait_loadcnt 0x0
	global_load_u16 v1, v[10:11], off
	s_wait_loadcnt 0x0
	v_cvt_f32_f16_e32 v1, v1
.LBB15_1270:
	s_cbranch_execnz .LBB15_1289
.LBB15_1271:
	s_cmp_lt_i32 s0, 2
	s_cbranch_scc1 .LBB15_1275
; %bb.1272:
	s_cmp_lt_i32 s0, 3
	s_cbranch_scc1 .LBB15_1276
; %bb.1273:
	s_cmp_gt_i32 s0, 3
	s_cbranch_scc0 .LBB15_1277
; %bb.1274:
	global_load_b64 v[16:17], v[10:11], off
	s_mov_b32 s11, 0
	s_wait_loadcnt 0x0
	v_xor_b32_e32 v1, v16, v17
	v_cls_i32_e32 v3, v17
	s_delay_alu instid0(VALU_DEP_2) | instskip(NEXT) | instid1(VALU_DEP_1)
	v_ashrrev_i32_e32 v1, 31, v1
	v_add_nc_u32_e32 v1, 32, v1
	s_delay_alu instid0(VALU_DEP_1) | instskip(NEXT) | instid1(VALU_DEP_1)
	v_add_min_u32_e64 v1, v3, -1, v1
	v_lshlrev_b64_e32 v[16:17], v1, v[16:17]
	v_sub_nc_u32_e32 v1, 32, v1
	s_delay_alu instid0(VALU_DEP_2) | instskip(NEXT) | instid1(VALU_DEP_1)
	v_min_u32_e32 v3, 1, v16
	v_or_b32_e32 v3, v17, v3
	s_delay_alu instid0(VALU_DEP_1) | instskip(NEXT) | instid1(VALU_DEP_1)
	v_cvt_f32_i32_e32 v3, v3
	v_ldexp_f32 v1, v3, v1
	s_branch .LBB15_1278
.LBB15_1275:
                                        ; implicit-def: $vgpr1
	s_branch .LBB15_1284
.LBB15_1276:
	s_mov_b32 s11, -1
                                        ; implicit-def: $vgpr1
	s_branch .LBB15_1281
.LBB15_1277:
	s_mov_b32 s11, -1
                                        ; implicit-def: $vgpr1
.LBB15_1278:
	s_delay_alu instid0(SALU_CYCLE_1)
	s_and_not1_b32 vcc_lo, exec_lo, s11
	s_cbranch_vccnz .LBB15_1280
; %bb.1279:
	s_wait_loadcnt 0x0
	global_load_b32 v1, v[10:11], off
	s_wait_loadcnt 0x0
	v_cvt_f32_i32_e32 v1, v1
.LBB15_1280:
	s_mov_b32 s11, 0
.LBB15_1281:
	s_delay_alu instid0(SALU_CYCLE_1)
	s_and_not1_b32 vcc_lo, exec_lo, s11
	s_cbranch_vccnz .LBB15_1283
; %bb.1282:
	s_wait_loadcnt 0x0
	global_load_i16 v1, v[10:11], off
	s_wait_loadcnt 0x0
	v_cvt_f32_i32_e32 v1, v1
.LBB15_1283:
	s_cbranch_execnz .LBB15_1289
.LBB15_1284:
	s_cmp_gt_i32 s0, 0
	s_mov_b32 s0, 0
	s_cbranch_scc0 .LBB15_1286
; %bb.1285:
	s_wait_loadcnt 0x0
	global_load_i8 v1, v[10:11], off
	s_wait_loadcnt 0x0
	v_cvt_f32_i32_e32 v1, v1
	s_branch .LBB15_1287
.LBB15_1286:
	s_mov_b32 s0, -1
                                        ; implicit-def: $vgpr1
.LBB15_1287:
	s_delay_alu instid0(SALU_CYCLE_1)
	s_and_not1_b32 vcc_lo, exec_lo, s0
	s_cbranch_vccnz .LBB15_1289
; %bb.1288:
	s_wait_loadcnt 0x0
	global_load_u8 v1, v[10:11], off
	s_wait_loadcnt 0x0
	v_cvt_f32_ubyte0_e32 v1, v1
.LBB15_1289:
.LBB15_1290:
	s_load_b32 s0, s[2:3], 0x158
	v_mov_b32_e32 v10, 1.0
	s_mov_b32 s11, exec_lo
	s_wait_loadcnt 0x0
	s_wait_kmcnt 0x0
	s_delay_alu instid0(VALU_DEP_2)
	v_cmpx_lt_f32_e32 s0, v1
	s_cbranch_execz .LBB15_1292
; %bb.1291:
	v_add_f32_e32 v1, 0x33d6bf95, v1
	s_delay_alu instid0(VALU_DEP_1) | instskip(NEXT) | instid1(VALU_DEP_1)
	v_div_scale_f32 v3, null, v1, v1, s0
	v_rcp_f32_e32 v5, v3
	v_nop
	s_delay_alu instid0(TRANS32_DEP_1) | instskip(NEXT) | instid1(VALU_DEP_1)
	v_fma_f32 v7, -v3, v5, 1.0
	v_fmac_f32_e32 v5, v7, v5
	v_div_scale_f32 v7, vcc_lo, s0, v1, s0
	s_delay_alu instid0(VALU_DEP_1) | instskip(NEXT) | instid1(VALU_DEP_1)
	v_mul_f32_e32 v9, v7, v5
	v_fma_f32 v10, -v3, v9, v7
	s_delay_alu instid0(VALU_DEP_1) | instskip(NEXT) | instid1(VALU_DEP_1)
	v_fmac_f32_e32 v9, v10, v5
	v_fma_f32 v3, -v3, v9, v7
	s_delay_alu instid0(VALU_DEP_1) | instskip(NEXT) | instid1(VALU_DEP_1)
	v_div_fmas_f32 v3, v3, v5, v9
	v_div_fixup_f32 v10, v3, v1, s0
.LBB15_1292:
	s_or_b32 exec_lo, exec_lo, s11
	v_mov_b32_e32 v13, 0
	s_and_b32 s10, 0xffff, s10
	s_delay_alu instid0(SALU_CYCLE_1) | instskip(NEXT) | instid1(VALU_DEP_1)
	s_cmp_lt_i32 s10, 11
	v_add_nc_u64_e32 v[12:13], s[6:7], v[12:13]
	s_cbranch_scc1 .LBB15_1299
; %bb.1293:
	s_cmp_gt_i32 s10, 25
	s_mov_b32 s12, 0
	s_cbranch_scc0 .LBB15_1301
; %bb.1294:
	s_cmp_gt_i32 s10, 28
	s_cbranch_scc0 .LBB15_1302
; %bb.1295:
	s_cmp_gt_i32 s10, 43
	;; [unrolled: 3-line block ×3, first 2 shown]
	s_cbranch_scc0 .LBB15_1305
; %bb.1297:
	s_cmp_eq_u32 s10, 46
	s_mov_b32 s14, 0
	s_cbranch_scc0 .LBB15_1308
; %bb.1298:
	global_load_b32 v1, v[12:13], off
	s_mov_b32 s11, 0
	s_mov_b32 s13, -1
	s_wait_loadcnt 0x0
	v_lshlrev_b32_e32 v1, 16, v1
	s_branch .LBB15_1310
.LBB15_1299:
	s_mov_b32 s13, 0
                                        ; implicit-def: $vgpr1
	s_cbranch_execnz .LBB15_1375
.LBB15_1300:
	s_and_not1_b32 vcc_lo, exec_lo, s13
	s_cbranch_vccnz .LBB15_1767
	s_branch .LBB15_1422
.LBB15_1301:
	s_mov_b32 s13, 0
	s_mov_b32 s11, 0
                                        ; implicit-def: $vgpr1
	s_cbranch_execnz .LBB15_1339
	s_branch .LBB15_1371
.LBB15_1302:
	s_mov_b32 s14, -1
	s_mov_b32 s13, 0
	s_mov_b32 s11, 0
                                        ; implicit-def: $vgpr1
	s_branch .LBB15_1320
.LBB15_1303:
	s_mov_b32 s14, -1
	s_mov_b32 s13, 0
	s_mov_b32 s11, 0
                                        ; implicit-def: $vgpr1
	s_branch .LBB15_1315
.LBB15_1304:
	s_or_b32 s1, s8, exec_lo
	s_trap 2
	s_cbranch_execz .LBB15_1243
	s_branch .LBB15_1244
.LBB15_1305:
	s_mov_b32 s14, -1
	s_mov_b32 s13, 0
	s_mov_b32 s11, 0
	s_branch .LBB15_1309
.LBB15_1306:
	s_and_not1_saveexec_b32 s10, s10
	s_cbranch_execz .LBB15_1029
.LBB15_1307:
	v_add_f32_e64 v1, 0x42800000, |v0|
	s_and_not1_b32 s9, s9, exec_lo
	s_delay_alu instid0(VALU_DEP_1) | instskip(NEXT) | instid1(VALU_DEP_1)
	v_and_b32_e32 v1, 0xff, v1
	v_cmp_ne_u32_e32 vcc_lo, 0, v1
	s_and_b32 s11, vcc_lo, exec_lo
	s_delay_alu instid0(SALU_CYCLE_1)
	s_or_b32 s9, s9, s11
	s_or_b32 exec_lo, exec_lo, s10
	v_mov_b32_e32 v2, 0
	s_and_saveexec_b32 s10, s9
	s_cbranch_execnz .LBB15_1030
	s_branch .LBB15_1031
.LBB15_1308:
	s_mov_b32 s11, -1
	s_mov_b32 s13, 0
.LBB15_1309:
                                        ; implicit-def: $vgpr1
.LBB15_1310:
	s_and_b32 vcc_lo, exec_lo, s14
	s_cbranch_vccz .LBB15_1314
; %bb.1311:
	s_cmp_eq_u32 s10, 44
	s_cbranch_scc0 .LBB15_1313
; %bb.1312:
	global_load_u8 v1, v[12:13], off
	s_mov_b32 s11, 0
	s_mov_b32 s13, -1
	s_wait_loadcnt 0x0
	v_lshlrev_b32_e32 v3, 23, v1
	v_cmp_ne_u32_e32 vcc_lo, 0xff, v1
	s_delay_alu instid0(VALU_DEP_2) | instskip(SKIP_1) | instid1(VALU_DEP_2)
	v_cndmask_b32_e32 v3, 0x7f800001, v3, vcc_lo
	v_cmp_ne_u32_e32 vcc_lo, 0, v1
	v_cndmask_b32_e32 v1, 0x400000, v3, vcc_lo
	s_branch .LBB15_1314
.LBB15_1313:
	s_mov_b32 s11, -1
                                        ; implicit-def: $vgpr1
.LBB15_1314:
	s_mov_b32 s14, 0
.LBB15_1315:
	s_delay_alu instid0(SALU_CYCLE_1)
	s_and_b32 vcc_lo, exec_lo, s14
	s_cbranch_vccz .LBB15_1319
; %bb.1316:
	s_cmp_eq_u32 s10, 29
	s_cbranch_scc0 .LBB15_1318
; %bb.1317:
	global_load_b64 v[16:17], v[12:13], off
	s_mov_b32 s11, 0
	s_mov_b32 s13, -1
	s_mov_b32 s14, 0
	s_wait_loadcnt 0x0
	v_clz_i32_u32_e32 v1, v17
	s_delay_alu instid0(VALU_DEP_1) | instskip(NEXT) | instid1(VALU_DEP_1)
	v_min_u32_e32 v1, 32, v1
	v_lshlrev_b64_e32 v[16:17], v1, v[16:17]
	v_sub_nc_u32_e32 v1, 32, v1
	s_delay_alu instid0(VALU_DEP_2) | instskip(NEXT) | instid1(VALU_DEP_1)
	v_min_u32_e32 v3, 1, v16
	v_or_b32_e32 v3, v17, v3
	s_delay_alu instid0(VALU_DEP_1) | instskip(NEXT) | instid1(VALU_DEP_1)
	v_cvt_f32_u32_e32 v3, v3
	v_ldexp_f32 v1, v3, v1
	s_branch .LBB15_1320
.LBB15_1318:
	s_mov_b32 s11, -1
                                        ; implicit-def: $vgpr1
.LBB15_1319:
	s_mov_b32 s14, 0
.LBB15_1320:
	s_delay_alu instid0(SALU_CYCLE_1)
	s_and_b32 vcc_lo, exec_lo, s14
	s_cbranch_vccz .LBB15_1338
; %bb.1321:
	s_cmp_lt_i32 s10, 27
	s_cbranch_scc1 .LBB15_1324
; %bb.1322:
	s_cmp_gt_i32 s10, 27
	s_cbranch_scc0 .LBB15_1325
; %bb.1323:
	global_load_b32 v1, v[12:13], off
	s_mov_b32 s13, 0
	s_wait_loadcnt 0x0
	v_cvt_f32_u32_e32 v1, v1
	s_branch .LBB15_1326
.LBB15_1324:
	s_mov_b32 s13, -1
                                        ; implicit-def: $vgpr1
	s_branch .LBB15_1329
.LBB15_1325:
	s_mov_b32 s13, -1
                                        ; implicit-def: $vgpr1
.LBB15_1326:
	s_delay_alu instid0(SALU_CYCLE_1)
	s_and_not1_b32 vcc_lo, exec_lo, s13
	s_cbranch_vccnz .LBB15_1328
; %bb.1327:
	global_load_u16 v1, v[12:13], off
	s_wait_loadcnt 0x0
	v_cvt_f32_u32_e32 v1, v1
.LBB15_1328:
	s_mov_b32 s13, 0
.LBB15_1329:
	s_delay_alu instid0(SALU_CYCLE_1)
	s_and_not1_b32 vcc_lo, exec_lo, s13
	s_cbranch_vccnz .LBB15_1337
; %bb.1330:
	global_load_u8 v3, v[12:13], off
	s_mov_b32 s13, 0
	s_mov_b32 s14, exec_lo
	s_wait_loadcnt 0x0
	v_cmpx_lt_i16_e32 0x7f, v3
	s_xor_b32 s14, exec_lo, s14
	s_cbranch_execz .LBB15_1350
; %bb.1331:
	s_mov_b32 s13, -1
	s_mov_b32 s15, exec_lo
	v_cmpx_eq_u16_e32 0x80, v3
; %bb.1332:
	s_xor_b32 s13, exec_lo, -1
; %bb.1333:
	s_or_b32 exec_lo, exec_lo, s15
	s_delay_alu instid0(SALU_CYCLE_1)
	s_and_b32 s13, s13, exec_lo
	s_or_saveexec_b32 s14, s14
	v_mov_b32_e32 v1, 0x7f800001
	s_xor_b32 exec_lo, exec_lo, s14
	s_cbranch_execnz .LBB15_1351
.LBB15_1334:
	s_or_b32 exec_lo, exec_lo, s14
	s_and_saveexec_b32 s14, s13
	s_cbranch_execz .LBB15_1336
.LBB15_1335:
	v_and_b32_e32 v1, 0xffff, v3
	s_delay_alu instid0(VALU_DEP_1) | instskip(SKIP_1) | instid1(VALU_DEP_2)
	v_and_b32_e32 v5, 7, v1
	v_bfe_u32 v11, v1, 3, 4
	v_clz_i32_u32_e32 v7, v5
	s_delay_alu instid0(VALU_DEP_2) | instskip(NEXT) | instid1(VALU_DEP_2)
	v_cmp_eq_u32_e32 vcc_lo, 0, v11
	v_min_u32_e32 v7, 32, v7
	s_delay_alu instid0(VALU_DEP_1) | instskip(NEXT) | instid1(VALU_DEP_1)
	v_subrev_nc_u32_e32 v9, 28, v7
	v_dual_lshlrev_b32 v1, v9, v1 :: v_dual_sub_nc_u32 v7, 29, v7
	s_delay_alu instid0(VALU_DEP_1) | instskip(NEXT) | instid1(VALU_DEP_1)
	v_dual_lshlrev_b32 v3, 24, v3 :: v_dual_bitop2_b32 v1, 7, v1 bitop3:0x40
	v_dual_cndmask_b32 v1, v5, v1, vcc_lo :: v_dual_cndmask_b32 v7, v11, v7, vcc_lo
	s_delay_alu instid0(VALU_DEP_2) | instskip(NEXT) | instid1(VALU_DEP_2)
	v_and_b32_e32 v3, 0x80000000, v3
	v_lshlrev_b32_e32 v1, 20, v1
	s_delay_alu instid0(VALU_DEP_3) | instskip(NEXT) | instid1(VALU_DEP_1)
	v_lshl_add_u32 v5, v7, 23, 0x3b800000
	v_or3_b32 v1, v3, v5, v1
.LBB15_1336:
	s_or_b32 exec_lo, exec_lo, s14
.LBB15_1337:
	s_mov_b32 s13, -1
.LBB15_1338:
	s_branch .LBB15_1371
.LBB15_1339:
	s_cmp_gt_i32 s10, 22
	s_cbranch_scc0 .LBB15_1349
; %bb.1340:
	s_cmp_lt_i32 s10, 24
	s_cbranch_scc1 .LBB15_1352
; %bb.1341:
	s_cmp_gt_i32 s10, 24
	s_cbranch_scc0 .LBB15_1353
; %bb.1342:
	global_load_u8 v3, v[12:13], off
	s_mov_b32 s13, exec_lo
	s_wait_loadcnt 0x0
	v_cmpx_lt_i16_e32 0x7f, v3
	s_xor_b32 s13, exec_lo, s13
	s_cbranch_execz .LBB15_1365
; %bb.1343:
	s_mov_b32 s12, -1
	s_mov_b32 s14, exec_lo
	v_cmpx_eq_u16_e32 0x80, v3
; %bb.1344:
	s_xor_b32 s12, exec_lo, -1
; %bb.1345:
	s_or_b32 exec_lo, exec_lo, s14
	s_delay_alu instid0(SALU_CYCLE_1)
	s_and_b32 s12, s12, exec_lo
	s_or_saveexec_b32 s13, s13
	v_mov_b32_e32 v1, 0x7f800001
	s_xor_b32 exec_lo, exec_lo, s13
	s_cbranch_execnz .LBB15_1366
.LBB15_1346:
	s_or_b32 exec_lo, exec_lo, s13
	s_and_saveexec_b32 s13, s12
	s_cbranch_execz .LBB15_1348
.LBB15_1347:
	v_and_b32_e32 v1, 0xffff, v3
	s_delay_alu instid0(VALU_DEP_1) | instskip(SKIP_1) | instid1(VALU_DEP_2)
	v_and_b32_e32 v5, 3, v1
	v_bfe_u32 v11, v1, 2, 5
	v_clz_i32_u32_e32 v7, v5
	s_delay_alu instid0(VALU_DEP_2) | instskip(NEXT) | instid1(VALU_DEP_2)
	v_cmp_eq_u32_e32 vcc_lo, 0, v11
	v_min_u32_e32 v7, 32, v7
	s_delay_alu instid0(VALU_DEP_1) | instskip(NEXT) | instid1(VALU_DEP_1)
	v_subrev_nc_u32_e32 v9, 29, v7
	v_dual_lshlrev_b32 v1, v9, v1 :: v_dual_sub_nc_u32 v7, 30, v7
	s_delay_alu instid0(VALU_DEP_1) | instskip(NEXT) | instid1(VALU_DEP_1)
	v_dual_lshlrev_b32 v3, 24, v3 :: v_dual_bitop2_b32 v1, 3, v1 bitop3:0x40
	v_dual_cndmask_b32 v1, v5, v1, vcc_lo :: v_dual_cndmask_b32 v7, v11, v7, vcc_lo
	s_delay_alu instid0(VALU_DEP_2) | instskip(NEXT) | instid1(VALU_DEP_2)
	v_and_b32_e32 v3, 0x80000000, v3
	v_lshlrev_b32_e32 v1, 21, v1
	s_delay_alu instid0(VALU_DEP_3) | instskip(NEXT) | instid1(VALU_DEP_1)
	v_lshl_add_u32 v5, v7, 23, 0x37800000
	v_or3_b32 v1, v3, v5, v1
.LBB15_1348:
	s_or_b32 exec_lo, exec_lo, s13
	s_mov_b32 s12, 0
	s_branch .LBB15_1354
.LBB15_1349:
	s_mov_b32 s12, -1
                                        ; implicit-def: $vgpr1
	s_branch .LBB15_1360
.LBB15_1350:
	s_or_saveexec_b32 s14, s14
	v_mov_b32_e32 v1, 0x7f800001
	s_xor_b32 exec_lo, exec_lo, s14
	s_cbranch_execz .LBB15_1334
.LBB15_1351:
	v_cmp_ne_u16_e32 vcc_lo, 0, v3
	v_mov_b32_e32 v1, 0
	s_and_not1_b32 s13, s13, exec_lo
	s_and_b32 s15, vcc_lo, exec_lo
	s_delay_alu instid0(SALU_CYCLE_1)
	s_or_b32 s13, s13, s15
	s_or_b32 exec_lo, exec_lo, s14
	s_and_saveexec_b32 s14, s13
	s_cbranch_execnz .LBB15_1335
	s_branch .LBB15_1336
.LBB15_1352:
	s_mov_b32 s12, -1
                                        ; implicit-def: $vgpr1
	s_branch .LBB15_1357
.LBB15_1353:
	s_mov_b32 s12, -1
                                        ; implicit-def: $vgpr1
.LBB15_1354:
	s_delay_alu instid0(SALU_CYCLE_1)
	s_and_b32 vcc_lo, exec_lo, s12
	s_cbranch_vccz .LBB15_1356
; %bb.1355:
	global_load_u8 v1, v[12:13], off
	s_wait_loadcnt 0x0
	v_lshlrev_b32_e32 v1, 24, v1
	s_delay_alu instid0(VALU_DEP_1) | instskip(NEXT) | instid1(VALU_DEP_1)
	v_and_b32_e32 v3, 0x7f000000, v1
	v_clz_i32_u32_e32 v5, v3
	v_add_nc_u32_e32 v9, 0x1000000, v3
	v_cmp_ne_u32_e32 vcc_lo, 0, v3
	s_delay_alu instid0(VALU_DEP_3) | instskip(NEXT) | instid1(VALU_DEP_1)
	v_min_u32_e32 v5, 32, v5
	v_sub_nc_u32_e64 v5, v5, 4 clamp
	s_delay_alu instid0(VALU_DEP_1) | instskip(NEXT) | instid1(VALU_DEP_1)
	v_dual_lshlrev_b32 v7, v5, v3 :: v_dual_lshlrev_b32 v5, 23, v5
	v_lshrrev_b32_e32 v7, 4, v7
	s_delay_alu instid0(VALU_DEP_1) | instskip(SKIP_1) | instid1(VALU_DEP_2)
	v_sub_nc_u32_e32 v5, v7, v5
	v_ashrrev_i32_e32 v7, 8, v9
	v_add_nc_u32_e32 v5, 0x3c000000, v5
	s_delay_alu instid0(VALU_DEP_1) | instskip(NEXT) | instid1(VALU_DEP_1)
	v_and_or_b32 v5, 0x7f800000, v7, v5
	v_cndmask_b32_e32 v3, 0, v5, vcc_lo
	s_delay_alu instid0(VALU_DEP_1)
	v_and_or_b32 v1, 0x80000000, v1, v3
.LBB15_1356:
	s_mov_b32 s12, 0
.LBB15_1357:
	s_delay_alu instid0(SALU_CYCLE_1)
	s_and_not1_b32 vcc_lo, exec_lo, s12
	s_cbranch_vccnz .LBB15_1359
; %bb.1358:
	global_load_u8 v1, v[12:13], off
	s_wait_loadcnt 0x0
	v_lshlrev_b32_e32 v3, 25, v1
	v_lshlrev_b16 v1, 8, v1
	s_delay_alu instid0(VALU_DEP_1) | instskip(SKIP_1) | instid1(VALU_DEP_2)
	v_and_or_b32 v7, 0x7f00, v1, 0.5
	v_bfe_i32 v1, v1, 0, 16
	v_add_f32_e32 v7, -0.5, v7
	v_lshrrev_b32_e32 v5, 4, v3
	v_cmp_gt_u32_e32 vcc_lo, 0x8000000, v3
	s_delay_alu instid0(VALU_DEP_2) | instskip(NEXT) | instid1(VALU_DEP_1)
	v_or_b32_e32 v5, 0x70000000, v5
	v_mul_f32_e32 v5, 0x7800000, v5
	s_delay_alu instid0(VALU_DEP_1) | instskip(NEXT) | instid1(VALU_DEP_1)
	v_cndmask_b32_e32 v3, v5, v7, vcc_lo
	v_and_or_b32 v1, 0x80000000, v1, v3
.LBB15_1359:
	s_mov_b32 s12, 0
	s_mov_b32 s13, -1
.LBB15_1360:
	s_and_not1_b32 vcc_lo, exec_lo, s12
	s_mov_b32 s12, 0
	s_cbranch_vccnz .LBB15_1371
; %bb.1361:
	s_cmp_gt_i32 s10, 14
	s_cbranch_scc0 .LBB15_1364
; %bb.1362:
	s_cmp_eq_u32 s10, 15
	s_cbranch_scc0 .LBB15_1367
; %bb.1363:
	global_load_u16 v1, v[12:13], off
	s_mov_b32 s11, 0
	s_mov_b32 s13, -1
	s_wait_loadcnt 0x0
	v_lshlrev_b32_e32 v1, 16, v1
	s_branch .LBB15_1369
.LBB15_1364:
	s_mov_b32 s12, -1
	s_branch .LBB15_1368
.LBB15_1365:
	s_or_saveexec_b32 s13, s13
	v_mov_b32_e32 v1, 0x7f800001
	s_xor_b32 exec_lo, exec_lo, s13
	s_cbranch_execz .LBB15_1346
.LBB15_1366:
	v_cmp_ne_u16_e32 vcc_lo, 0, v3
	v_mov_b32_e32 v1, 0
	s_and_not1_b32 s12, s12, exec_lo
	s_and_b32 s14, vcc_lo, exec_lo
	s_delay_alu instid0(SALU_CYCLE_1)
	s_or_b32 s12, s12, s14
	s_or_b32 exec_lo, exec_lo, s13
	s_and_saveexec_b32 s13, s12
	s_cbranch_execnz .LBB15_1347
	s_branch .LBB15_1348
.LBB15_1367:
	s_mov_b32 s11, -1
.LBB15_1368:
                                        ; implicit-def: $vgpr1
.LBB15_1369:
	s_and_b32 vcc_lo, exec_lo, s12
	s_mov_b32 s12, 0
	s_cbranch_vccz .LBB15_1371
; %bb.1370:
	s_cmp_lg_u32 s10, 11
	s_mov_b32 s12, -1
	s_cselect_b32 s11, -1, 0
.LBB15_1371:
	s_delay_alu instid0(SALU_CYCLE_1)
	s_and_b32 vcc_lo, exec_lo, s11
	s_cbranch_vccnz .LBB15_1436
; %bb.1372:
	s_and_not1_b32 vcc_lo, exec_lo, s12
	s_cbranch_vccnz .LBB15_1374
.LBB15_1373:
	global_load_u8 v1, v[12:13], off
	s_mov_b32 s13, -1
	s_wait_loadcnt 0x0
	v_cmp_ne_u16_e32 vcc_lo, 0, v1
	v_cndmask_b32_e64 v1, 0, 1.0, vcc_lo
.LBB15_1374:
	s_branch .LBB15_1300
.LBB15_1375:
	s_cmp_lt_i32 s10, 5
	s_cbranch_scc1 .LBB15_1380
; %bb.1376:
	s_cmp_lt_i32 s10, 8
	s_cbranch_scc1 .LBB15_1381
; %bb.1377:
	;; [unrolled: 3-line block ×3, first 2 shown]
	s_cmp_gt_i32 s10, 9
	s_cbranch_scc0 .LBB15_1383
; %bb.1379:
	global_load_b64 v[16:17], v[12:13], off
	s_mov_b32 s11, 0
	s_wait_loadcnt 0x0
	v_cvt_f32_f64_e32 v1, v[16:17]
	s_branch .LBB15_1384
.LBB15_1380:
                                        ; implicit-def: $vgpr1
	s_branch .LBB15_1402
.LBB15_1381:
	s_mov_b32 s11, -1
                                        ; implicit-def: $vgpr1
	s_branch .LBB15_1390
.LBB15_1382:
	s_mov_b32 s11, -1
                                        ; implicit-def: $vgpr1
	s_branch .LBB15_1387
.LBB15_1383:
	s_mov_b32 s11, -1
                                        ; implicit-def: $vgpr1
.LBB15_1384:
	s_delay_alu instid0(SALU_CYCLE_1)
	s_and_not1_b32 vcc_lo, exec_lo, s11
	s_cbranch_vccnz .LBB15_1386
; %bb.1385:
	global_load_b32 v1, v[12:13], off
.LBB15_1386:
	s_mov_b32 s11, 0
.LBB15_1387:
	s_delay_alu instid0(SALU_CYCLE_1)
	s_and_not1_b32 vcc_lo, exec_lo, s11
	s_cbranch_vccnz .LBB15_1389
; %bb.1388:
	s_wait_loadcnt 0x0
	global_load_b32 v1, v[12:13], off
	s_wait_loadcnt 0x0
	v_cvt_f32_f16_e32 v1, v1
.LBB15_1389:
	s_mov_b32 s11, 0
.LBB15_1390:
	s_delay_alu instid0(SALU_CYCLE_1)
	s_and_not1_b32 vcc_lo, exec_lo, s11
	s_cbranch_vccnz .LBB15_1401
; %bb.1391:
	s_cmp_lt_i32 s10, 6
	s_cbranch_scc1 .LBB15_1394
; %bb.1392:
	s_cmp_gt_i32 s10, 6
	s_cbranch_scc0 .LBB15_1395
; %bb.1393:
	global_load_b64 v[16:17], v[12:13], off
	s_mov_b32 s11, 0
	s_wait_loadcnt 0x0
	v_cvt_f32_f64_e32 v1, v[16:17]
	s_branch .LBB15_1396
.LBB15_1394:
	s_mov_b32 s11, -1
                                        ; implicit-def: $vgpr1
	s_branch .LBB15_1399
.LBB15_1395:
	s_mov_b32 s11, -1
                                        ; implicit-def: $vgpr1
.LBB15_1396:
	s_delay_alu instid0(SALU_CYCLE_1)
	s_and_not1_b32 vcc_lo, exec_lo, s11
	s_cbranch_vccnz .LBB15_1398
; %bb.1397:
	s_wait_loadcnt 0x0
	global_load_b32 v1, v[12:13], off
.LBB15_1398:
	s_mov_b32 s11, 0
.LBB15_1399:
	s_delay_alu instid0(SALU_CYCLE_1)
	s_and_not1_b32 vcc_lo, exec_lo, s11
	s_cbranch_vccnz .LBB15_1401
; %bb.1400:
	s_wait_loadcnt 0x0
	global_load_u16 v1, v[12:13], off
	s_wait_loadcnt 0x0
	v_cvt_f32_f16_e32 v1, v1
.LBB15_1401:
	s_cbranch_execnz .LBB15_1421
.LBB15_1402:
	s_cmp_lt_i32 s10, 2
	s_cbranch_scc1 .LBB15_1406
; %bb.1403:
	s_cmp_lt_i32 s10, 3
	s_cbranch_scc1 .LBB15_1407
; %bb.1404:
	s_cmp_gt_i32 s10, 3
	s_cbranch_scc0 .LBB15_1408
; %bb.1405:
	global_load_b64 v[16:17], v[12:13], off
	s_mov_b32 s11, 0
	s_wait_loadcnt 0x0
	v_xor_b32_e32 v1, v16, v17
	v_cls_i32_e32 v3, v17
	s_delay_alu instid0(VALU_DEP_2) | instskip(NEXT) | instid1(VALU_DEP_1)
	v_ashrrev_i32_e32 v1, 31, v1
	v_add_nc_u32_e32 v1, 32, v1
	s_delay_alu instid0(VALU_DEP_1) | instskip(NEXT) | instid1(VALU_DEP_1)
	v_add_min_u32_e64 v1, v3, -1, v1
	v_lshlrev_b64_e32 v[16:17], v1, v[16:17]
	v_sub_nc_u32_e32 v1, 32, v1
	s_delay_alu instid0(VALU_DEP_2) | instskip(NEXT) | instid1(VALU_DEP_1)
	v_min_u32_e32 v3, 1, v16
	v_or_b32_e32 v3, v17, v3
	s_delay_alu instid0(VALU_DEP_1) | instskip(NEXT) | instid1(VALU_DEP_1)
	v_cvt_f32_i32_e32 v3, v3
	v_ldexp_f32 v1, v3, v1
	s_branch .LBB15_1409
.LBB15_1406:
	s_mov_b32 s11, -1
                                        ; implicit-def: $vgpr1
	s_branch .LBB15_1415
.LBB15_1407:
	s_mov_b32 s11, -1
                                        ; implicit-def: $vgpr1
	s_branch .LBB15_1412
.LBB15_1408:
	s_mov_b32 s11, -1
                                        ; implicit-def: $vgpr1
.LBB15_1409:
	s_delay_alu instid0(SALU_CYCLE_1)
	s_and_not1_b32 vcc_lo, exec_lo, s11
	s_cbranch_vccnz .LBB15_1411
; %bb.1410:
	s_wait_loadcnt 0x0
	global_load_b32 v1, v[12:13], off
	s_wait_loadcnt 0x0
	v_cvt_f32_i32_e32 v1, v1
.LBB15_1411:
	s_mov_b32 s11, 0
.LBB15_1412:
	s_delay_alu instid0(SALU_CYCLE_1)
	s_and_not1_b32 vcc_lo, exec_lo, s11
	s_cbranch_vccnz .LBB15_1414
; %bb.1413:
	s_wait_loadcnt 0x0
	global_load_i16 v1, v[12:13], off
	s_wait_loadcnt 0x0
	v_cvt_f32_i32_e32 v1, v1
.LBB15_1414:
	s_mov_b32 s11, 0
.LBB15_1415:
	s_delay_alu instid0(SALU_CYCLE_1)
	s_and_not1_b32 vcc_lo, exec_lo, s11
	s_cbranch_vccnz .LBB15_1421
; %bb.1416:
	s_cmp_gt_i32 s10, 0
	s_mov_b32 s11, 0
	s_cbranch_scc0 .LBB15_1418
; %bb.1417:
	s_wait_loadcnt 0x0
	global_load_i8 v1, v[12:13], off
	s_wait_loadcnt 0x0
	v_cvt_f32_i32_e32 v1, v1
	s_branch .LBB15_1419
.LBB15_1418:
	s_mov_b32 s11, -1
                                        ; implicit-def: $vgpr1
.LBB15_1419:
	s_delay_alu instid0(SALU_CYCLE_1)
	s_and_not1_b32 vcc_lo, exec_lo, s11
	s_cbranch_vccnz .LBB15_1421
; %bb.1420:
	s_wait_loadcnt 0x0
	global_load_u8 v1, v[12:13], off
	s_wait_loadcnt 0x0
	v_cvt_f32_ubyte0_e32 v1, v1
.LBB15_1421:
.LBB15_1422:
	s_wait_xcnt 0x0
	v_mov_b32_e32 v12, 1.0
	s_mov_b32 s11, exec_lo
	s_wait_loadcnt 0x0
	s_delay_alu instid0(VALU_DEP_2)
	v_cmpx_lt_f32_e32 s0, v1
	s_cbranch_execz .LBB15_1424
; %bb.1423:
	v_add_f32_e32 v1, 0x33d6bf95, v1
	s_delay_alu instid0(VALU_DEP_1) | instskip(NEXT) | instid1(VALU_DEP_1)
	v_div_scale_f32 v3, null, v1, v1, s0
	v_rcp_f32_e32 v5, v3
	v_nop
	s_delay_alu instid0(TRANS32_DEP_1) | instskip(NEXT) | instid1(VALU_DEP_1)
	v_fma_f32 v7, -v3, v5, 1.0
	v_fmac_f32_e32 v5, v7, v5
	v_div_scale_f32 v7, vcc_lo, s0, v1, s0
	s_delay_alu instid0(VALU_DEP_1) | instskip(NEXT) | instid1(VALU_DEP_1)
	v_mul_f32_e32 v9, v7, v5
	v_fma_f32 v11, -v3, v9, v7
	s_delay_alu instid0(VALU_DEP_1) | instskip(NEXT) | instid1(VALU_DEP_1)
	v_fmac_f32_e32 v9, v11, v5
	v_fma_f32 v3, -v3, v9, v7
	s_delay_alu instid0(VALU_DEP_1) | instskip(NEXT) | instid1(VALU_DEP_1)
	v_div_fmas_f32 v3, v3, v5, v9
	v_div_fixup_f32 v12, v3, v1, s0
.LBB15_1424:
	s_or_b32 exec_lo, exec_lo, s11
	v_mov_b32_e32 v15, 0
	s_cmp_lt_i32 s10, 11
	s_delay_alu instid0(VALU_DEP_1)
	v_add_nc_u64_e32 v[14:15], s[6:7], v[14:15]
	s_cbranch_scc1 .LBB15_1431
; %bb.1425:
	s_cmp_gt_i32 s10, 25
	s_mov_b32 s12, 0
	s_cbranch_scc0 .LBB15_1433
; %bb.1426:
	s_cmp_gt_i32 s10, 28
	s_cbranch_scc0 .LBB15_1434
; %bb.1427:
	s_cmp_gt_i32 s10, 43
	;; [unrolled: 3-line block ×3, first 2 shown]
	s_cbranch_scc0 .LBB15_1437
; %bb.1429:
	s_cmp_eq_u32 s10, 46
	s_mov_b32 s14, 0
	s_cbranch_scc0 .LBB15_1438
; %bb.1430:
	global_load_b32 v1, v[14:15], off
	s_mov_b32 s11, 0
	s_mov_b32 s13, -1
	s_wait_loadcnt 0x0
	v_lshlrev_b32_e32 v1, 16, v1
	s_branch .LBB15_1440
.LBB15_1431:
	s_mov_b32 s13, 0
                                        ; implicit-def: $vgpr1
	s_cbranch_execnz .LBB15_1506
.LBB15_1432:
	s_and_not1_b32 vcc_lo, exec_lo, s13
	s_cbranch_vccnz .LBB15_1767
	s_branch .LBB15_1554
.LBB15_1433:
	s_mov_b32 s14, -1
	s_mov_b32 s13, 0
	s_mov_b32 s11, 0
                                        ; implicit-def: $vgpr1
	s_branch .LBB15_1469
.LBB15_1434:
	s_mov_b32 s14, -1
	s_mov_b32 s13, 0
	s_mov_b32 s11, 0
                                        ; implicit-def: $vgpr1
	s_branch .LBB15_1450
.LBB15_1435:
	s_mov_b32 s14, -1
	s_mov_b32 s13, 0
	s_mov_b32 s11, 0
                                        ; implicit-def: $vgpr1
	s_branch .LBB15_1445
.LBB15_1436:
	s_or_b32 s1, s1, exec_lo
	s_trap 2
	s_cbranch_execz .LBB15_1373
	s_branch .LBB15_1374
.LBB15_1437:
	s_mov_b32 s14, -1
	s_mov_b32 s13, 0
	s_mov_b32 s11, 0
	s_branch .LBB15_1439
.LBB15_1438:
	s_mov_b32 s11, -1
	s_mov_b32 s13, 0
.LBB15_1439:
                                        ; implicit-def: $vgpr1
.LBB15_1440:
	s_and_b32 vcc_lo, exec_lo, s14
	s_cbranch_vccz .LBB15_1444
; %bb.1441:
	s_cmp_eq_u32 s10, 44
	s_cbranch_scc0 .LBB15_1443
; %bb.1442:
	global_load_u8 v1, v[14:15], off
	s_mov_b32 s11, 0
	s_mov_b32 s13, -1
	s_wait_loadcnt 0x0
	v_lshlrev_b32_e32 v3, 23, v1
	v_cmp_ne_u32_e32 vcc_lo, 0xff, v1
	s_delay_alu instid0(VALU_DEP_2) | instskip(SKIP_1) | instid1(VALU_DEP_2)
	v_cndmask_b32_e32 v3, 0x7f800001, v3, vcc_lo
	v_cmp_ne_u32_e32 vcc_lo, 0, v1
	v_cndmask_b32_e32 v1, 0x400000, v3, vcc_lo
	s_branch .LBB15_1444
.LBB15_1443:
	s_mov_b32 s11, -1
                                        ; implicit-def: $vgpr1
.LBB15_1444:
	s_mov_b32 s14, 0
.LBB15_1445:
	s_delay_alu instid0(SALU_CYCLE_1)
	s_and_b32 vcc_lo, exec_lo, s14
	s_cbranch_vccz .LBB15_1449
; %bb.1446:
	s_cmp_eq_u32 s10, 29
	s_cbranch_scc0 .LBB15_1448
; %bb.1447:
	global_load_b64 v[16:17], v[14:15], off
	s_mov_b32 s11, 0
	s_mov_b32 s13, -1
	s_mov_b32 s14, 0
	s_wait_loadcnt 0x0
	v_clz_i32_u32_e32 v1, v17
	s_delay_alu instid0(VALU_DEP_1) | instskip(NEXT) | instid1(VALU_DEP_1)
	v_min_u32_e32 v1, 32, v1
	v_lshlrev_b64_e32 v[16:17], v1, v[16:17]
	v_sub_nc_u32_e32 v1, 32, v1
	s_delay_alu instid0(VALU_DEP_2) | instskip(NEXT) | instid1(VALU_DEP_1)
	v_min_u32_e32 v3, 1, v16
	v_or_b32_e32 v3, v17, v3
	s_delay_alu instid0(VALU_DEP_1) | instskip(NEXT) | instid1(VALU_DEP_1)
	v_cvt_f32_u32_e32 v3, v3
	v_ldexp_f32 v1, v3, v1
	s_branch .LBB15_1450
.LBB15_1448:
	s_mov_b32 s11, -1
                                        ; implicit-def: $vgpr1
.LBB15_1449:
	s_mov_b32 s14, 0
.LBB15_1450:
	s_delay_alu instid0(SALU_CYCLE_1)
	s_and_b32 vcc_lo, exec_lo, s14
	s_cbranch_vccz .LBB15_1468
; %bb.1451:
	s_cmp_lt_i32 s10, 27
	s_cbranch_scc1 .LBB15_1454
; %bb.1452:
	s_cmp_gt_i32 s10, 27
	s_cbranch_scc0 .LBB15_1455
; %bb.1453:
	global_load_b32 v1, v[14:15], off
	s_mov_b32 s13, 0
	s_wait_loadcnt 0x0
	v_cvt_f32_u32_e32 v1, v1
	s_branch .LBB15_1456
.LBB15_1454:
	s_mov_b32 s13, -1
                                        ; implicit-def: $vgpr1
	s_branch .LBB15_1459
.LBB15_1455:
	s_mov_b32 s13, -1
                                        ; implicit-def: $vgpr1
.LBB15_1456:
	s_delay_alu instid0(SALU_CYCLE_1)
	s_and_not1_b32 vcc_lo, exec_lo, s13
	s_cbranch_vccnz .LBB15_1458
; %bb.1457:
	global_load_u16 v1, v[14:15], off
	s_wait_loadcnt 0x0
	v_cvt_f32_u32_e32 v1, v1
.LBB15_1458:
	s_mov_b32 s13, 0
.LBB15_1459:
	s_delay_alu instid0(SALU_CYCLE_1)
	s_and_not1_b32 vcc_lo, exec_lo, s13
	s_cbranch_vccnz .LBB15_1467
; %bb.1460:
	global_load_u8 v3, v[14:15], off
	s_mov_b32 s13, 0
	s_mov_b32 s14, exec_lo
	s_wait_loadcnt 0x0
	v_cmpx_lt_i16_e32 0x7f, v3
	s_xor_b32 s14, exec_lo, s14
	s_cbranch_execz .LBB15_1481
; %bb.1461:
	s_mov_b32 s13, -1
	s_mov_b32 s15, exec_lo
	v_cmpx_eq_u16_e32 0x80, v3
; %bb.1462:
	s_xor_b32 s13, exec_lo, -1
; %bb.1463:
	s_or_b32 exec_lo, exec_lo, s15
	s_delay_alu instid0(SALU_CYCLE_1)
	s_and_b32 s13, s13, exec_lo
	s_or_saveexec_b32 s14, s14
	v_mov_b32_e32 v1, 0x7f800001
	s_xor_b32 exec_lo, exec_lo, s14
	s_cbranch_execnz .LBB15_1482
.LBB15_1464:
	s_or_b32 exec_lo, exec_lo, s14
	s_and_saveexec_b32 s14, s13
	s_cbranch_execz .LBB15_1466
.LBB15_1465:
	v_and_b32_e32 v1, 0xffff, v3
	s_delay_alu instid0(VALU_DEP_1) | instskip(SKIP_1) | instid1(VALU_DEP_2)
	v_and_b32_e32 v5, 7, v1
	v_bfe_u32 v11, v1, 3, 4
	v_clz_i32_u32_e32 v7, v5
	s_delay_alu instid0(VALU_DEP_2) | instskip(NEXT) | instid1(VALU_DEP_2)
	v_cmp_eq_u32_e32 vcc_lo, 0, v11
	v_min_u32_e32 v7, 32, v7
	s_delay_alu instid0(VALU_DEP_1) | instskip(NEXT) | instid1(VALU_DEP_1)
	v_subrev_nc_u32_e32 v9, 28, v7
	v_dual_lshlrev_b32 v1, v9, v1 :: v_dual_sub_nc_u32 v7, 29, v7
	s_delay_alu instid0(VALU_DEP_1) | instskip(NEXT) | instid1(VALU_DEP_1)
	v_dual_lshlrev_b32 v3, 24, v3 :: v_dual_bitop2_b32 v1, 7, v1 bitop3:0x40
	v_dual_cndmask_b32 v1, v5, v1, vcc_lo :: v_dual_cndmask_b32 v7, v11, v7, vcc_lo
	s_delay_alu instid0(VALU_DEP_2) | instskip(NEXT) | instid1(VALU_DEP_2)
	v_and_b32_e32 v3, 0x80000000, v3
	v_lshlrev_b32_e32 v1, 20, v1
	s_delay_alu instid0(VALU_DEP_3) | instskip(NEXT) | instid1(VALU_DEP_1)
	v_lshl_add_u32 v5, v7, 23, 0x3b800000
	v_or3_b32 v1, v3, v5, v1
.LBB15_1466:
	s_or_b32 exec_lo, exec_lo, s14
.LBB15_1467:
	s_mov_b32 s13, -1
.LBB15_1468:
	s_mov_b32 s14, 0
.LBB15_1469:
	s_delay_alu instid0(SALU_CYCLE_1)
	s_and_b32 vcc_lo, exec_lo, s14
	s_cbranch_vccz .LBB15_1502
; %bb.1470:
	s_cmp_gt_i32 s10, 22
	s_cbranch_scc0 .LBB15_1480
; %bb.1471:
	s_cmp_lt_i32 s10, 24
	s_cbranch_scc1 .LBB15_1483
; %bb.1472:
	s_cmp_gt_i32 s10, 24
	s_cbranch_scc0 .LBB15_1484
; %bb.1473:
	global_load_u8 v3, v[14:15], off
	s_mov_b32 s13, exec_lo
	s_wait_loadcnt 0x0
	v_cmpx_lt_i16_e32 0x7f, v3
	s_xor_b32 s13, exec_lo, s13
	s_cbranch_execz .LBB15_1496
; %bb.1474:
	s_mov_b32 s12, -1
	s_mov_b32 s14, exec_lo
	v_cmpx_eq_u16_e32 0x80, v3
; %bb.1475:
	s_xor_b32 s12, exec_lo, -1
; %bb.1476:
	s_or_b32 exec_lo, exec_lo, s14
	s_delay_alu instid0(SALU_CYCLE_1)
	s_and_b32 s12, s12, exec_lo
	s_or_saveexec_b32 s13, s13
	v_mov_b32_e32 v1, 0x7f800001
	s_xor_b32 exec_lo, exec_lo, s13
	s_cbranch_execnz .LBB15_1497
.LBB15_1477:
	s_or_b32 exec_lo, exec_lo, s13
	s_and_saveexec_b32 s13, s12
	s_cbranch_execz .LBB15_1479
.LBB15_1478:
	v_and_b32_e32 v1, 0xffff, v3
	s_delay_alu instid0(VALU_DEP_1) | instskip(SKIP_1) | instid1(VALU_DEP_2)
	v_and_b32_e32 v5, 3, v1
	v_bfe_u32 v11, v1, 2, 5
	v_clz_i32_u32_e32 v7, v5
	s_delay_alu instid0(VALU_DEP_2) | instskip(NEXT) | instid1(VALU_DEP_2)
	v_cmp_eq_u32_e32 vcc_lo, 0, v11
	v_min_u32_e32 v7, 32, v7
	s_delay_alu instid0(VALU_DEP_1) | instskip(NEXT) | instid1(VALU_DEP_1)
	v_subrev_nc_u32_e32 v9, 29, v7
	v_dual_lshlrev_b32 v1, v9, v1 :: v_dual_sub_nc_u32 v7, 30, v7
	s_delay_alu instid0(VALU_DEP_1) | instskip(NEXT) | instid1(VALU_DEP_1)
	v_dual_lshlrev_b32 v3, 24, v3 :: v_dual_bitop2_b32 v1, 3, v1 bitop3:0x40
	v_dual_cndmask_b32 v1, v5, v1, vcc_lo :: v_dual_cndmask_b32 v7, v11, v7, vcc_lo
	s_delay_alu instid0(VALU_DEP_2) | instskip(NEXT) | instid1(VALU_DEP_2)
	v_and_b32_e32 v3, 0x80000000, v3
	v_lshlrev_b32_e32 v1, 21, v1
	s_delay_alu instid0(VALU_DEP_3) | instskip(NEXT) | instid1(VALU_DEP_1)
	v_lshl_add_u32 v5, v7, 23, 0x37800000
	v_or3_b32 v1, v3, v5, v1
.LBB15_1479:
	s_or_b32 exec_lo, exec_lo, s13
	s_mov_b32 s12, 0
	s_branch .LBB15_1485
.LBB15_1480:
	s_mov_b32 s12, -1
                                        ; implicit-def: $vgpr1
	s_branch .LBB15_1491
.LBB15_1481:
	s_or_saveexec_b32 s14, s14
	v_mov_b32_e32 v1, 0x7f800001
	s_xor_b32 exec_lo, exec_lo, s14
	s_cbranch_execz .LBB15_1464
.LBB15_1482:
	v_cmp_ne_u16_e32 vcc_lo, 0, v3
	v_mov_b32_e32 v1, 0
	s_and_not1_b32 s13, s13, exec_lo
	s_and_b32 s15, vcc_lo, exec_lo
	s_delay_alu instid0(SALU_CYCLE_1)
	s_or_b32 s13, s13, s15
	s_or_b32 exec_lo, exec_lo, s14
	s_and_saveexec_b32 s14, s13
	s_cbranch_execnz .LBB15_1465
	s_branch .LBB15_1466
.LBB15_1483:
	s_mov_b32 s12, -1
                                        ; implicit-def: $vgpr1
	s_branch .LBB15_1488
.LBB15_1484:
	s_mov_b32 s12, -1
                                        ; implicit-def: $vgpr1
.LBB15_1485:
	s_delay_alu instid0(SALU_CYCLE_1)
	s_and_b32 vcc_lo, exec_lo, s12
	s_cbranch_vccz .LBB15_1487
; %bb.1486:
	global_load_u8 v1, v[14:15], off
	s_wait_loadcnt 0x0
	v_lshlrev_b32_e32 v1, 24, v1
	s_delay_alu instid0(VALU_DEP_1) | instskip(NEXT) | instid1(VALU_DEP_1)
	v_and_b32_e32 v3, 0x7f000000, v1
	v_clz_i32_u32_e32 v5, v3
	v_add_nc_u32_e32 v9, 0x1000000, v3
	v_cmp_ne_u32_e32 vcc_lo, 0, v3
	s_delay_alu instid0(VALU_DEP_3) | instskip(NEXT) | instid1(VALU_DEP_1)
	v_min_u32_e32 v5, 32, v5
	v_sub_nc_u32_e64 v5, v5, 4 clamp
	s_delay_alu instid0(VALU_DEP_1) | instskip(NEXT) | instid1(VALU_DEP_1)
	v_dual_lshlrev_b32 v7, v5, v3 :: v_dual_lshlrev_b32 v5, 23, v5
	v_lshrrev_b32_e32 v7, 4, v7
	s_delay_alu instid0(VALU_DEP_1) | instskip(SKIP_1) | instid1(VALU_DEP_2)
	v_sub_nc_u32_e32 v5, v7, v5
	v_ashrrev_i32_e32 v7, 8, v9
	v_add_nc_u32_e32 v5, 0x3c000000, v5
	s_delay_alu instid0(VALU_DEP_1) | instskip(NEXT) | instid1(VALU_DEP_1)
	v_and_or_b32 v5, 0x7f800000, v7, v5
	v_cndmask_b32_e32 v3, 0, v5, vcc_lo
	s_delay_alu instid0(VALU_DEP_1)
	v_and_or_b32 v1, 0x80000000, v1, v3
.LBB15_1487:
	s_mov_b32 s12, 0
.LBB15_1488:
	s_delay_alu instid0(SALU_CYCLE_1)
	s_and_not1_b32 vcc_lo, exec_lo, s12
	s_cbranch_vccnz .LBB15_1490
; %bb.1489:
	global_load_u8 v1, v[14:15], off
	s_wait_loadcnt 0x0
	v_lshlrev_b32_e32 v3, 25, v1
	v_lshlrev_b16 v1, 8, v1
	s_delay_alu instid0(VALU_DEP_1) | instskip(SKIP_1) | instid1(VALU_DEP_2)
	v_and_or_b32 v7, 0x7f00, v1, 0.5
	v_bfe_i32 v1, v1, 0, 16
	v_add_f32_e32 v7, -0.5, v7
	v_lshrrev_b32_e32 v5, 4, v3
	v_cmp_gt_u32_e32 vcc_lo, 0x8000000, v3
	s_delay_alu instid0(VALU_DEP_2) | instskip(NEXT) | instid1(VALU_DEP_1)
	v_or_b32_e32 v5, 0x70000000, v5
	v_mul_f32_e32 v5, 0x7800000, v5
	s_delay_alu instid0(VALU_DEP_1) | instskip(NEXT) | instid1(VALU_DEP_1)
	v_cndmask_b32_e32 v3, v5, v7, vcc_lo
	v_and_or_b32 v1, 0x80000000, v1, v3
.LBB15_1490:
	s_mov_b32 s12, 0
	s_mov_b32 s13, -1
.LBB15_1491:
	s_and_not1_b32 vcc_lo, exec_lo, s12
	s_mov_b32 s12, 0
	s_cbranch_vccnz .LBB15_1502
; %bb.1492:
	s_cmp_gt_i32 s10, 14
	s_cbranch_scc0 .LBB15_1495
; %bb.1493:
	s_cmp_eq_u32 s10, 15
	s_cbranch_scc0 .LBB15_1498
; %bb.1494:
	global_load_u16 v1, v[14:15], off
	s_mov_b32 s11, 0
	s_mov_b32 s13, -1
	s_wait_loadcnt 0x0
	v_lshlrev_b32_e32 v1, 16, v1
	s_branch .LBB15_1500
.LBB15_1495:
	s_mov_b32 s12, -1
	s_branch .LBB15_1499
.LBB15_1496:
	s_or_saveexec_b32 s13, s13
	v_mov_b32_e32 v1, 0x7f800001
	s_xor_b32 exec_lo, exec_lo, s13
	s_cbranch_execz .LBB15_1477
.LBB15_1497:
	v_cmp_ne_u16_e32 vcc_lo, 0, v3
	v_mov_b32_e32 v1, 0
	s_and_not1_b32 s12, s12, exec_lo
	s_and_b32 s14, vcc_lo, exec_lo
	s_delay_alu instid0(SALU_CYCLE_1)
	s_or_b32 s12, s12, s14
	s_or_b32 exec_lo, exec_lo, s13
	s_and_saveexec_b32 s13, s12
	s_cbranch_execnz .LBB15_1478
	s_branch .LBB15_1479
.LBB15_1498:
	s_mov_b32 s11, -1
.LBB15_1499:
                                        ; implicit-def: $vgpr1
.LBB15_1500:
	s_and_b32 vcc_lo, exec_lo, s12
	s_mov_b32 s12, 0
	s_cbranch_vccz .LBB15_1502
; %bb.1501:
	s_cmp_lg_u32 s10, 11
	s_mov_b32 s12, -1
	s_cselect_b32 s11, -1, 0
.LBB15_1502:
	s_delay_alu instid0(SALU_CYCLE_1)
	s_and_b32 vcc_lo, exec_lo, s11
	s_cbranch_vccnz .LBB15_1567
; %bb.1503:
	s_and_not1_b32 vcc_lo, exec_lo, s12
	s_cbranch_vccnz .LBB15_1505
.LBB15_1504:
	global_load_u8 v1, v[14:15], off
	s_mov_b32 s13, -1
	s_wait_loadcnt 0x0
	v_cmp_ne_u16_e32 vcc_lo, 0, v1
	v_cndmask_b32_e64 v1, 0, 1.0, vcc_lo
.LBB15_1505:
	s_branch .LBB15_1432
.LBB15_1506:
	s_cmp_lt_i32 s10, 5
	s_cbranch_scc1 .LBB15_1511
; %bb.1507:
	s_cmp_lt_i32 s10, 8
	s_cbranch_scc1 .LBB15_1512
; %bb.1508:
	;; [unrolled: 3-line block ×3, first 2 shown]
	s_cmp_gt_i32 s10, 9
	s_cbranch_scc0 .LBB15_1514
; %bb.1510:
	global_load_b64 v[16:17], v[14:15], off
	s_mov_b32 s11, 0
	s_wait_loadcnt 0x0
	v_cvt_f32_f64_e32 v1, v[16:17]
	s_branch .LBB15_1515
.LBB15_1511:
	s_mov_b32 s11, -1
                                        ; implicit-def: $vgpr1
	s_branch .LBB15_1533
.LBB15_1512:
	s_mov_b32 s11, -1
                                        ; implicit-def: $vgpr1
	s_branch .LBB15_1521
.LBB15_1513:
	s_mov_b32 s11, -1
                                        ; implicit-def: $vgpr1
	s_branch .LBB15_1518
.LBB15_1514:
	s_mov_b32 s11, -1
                                        ; implicit-def: $vgpr1
.LBB15_1515:
	s_delay_alu instid0(SALU_CYCLE_1)
	s_and_not1_b32 vcc_lo, exec_lo, s11
	s_cbranch_vccnz .LBB15_1517
; %bb.1516:
	global_load_b32 v1, v[14:15], off
.LBB15_1517:
	s_mov_b32 s11, 0
.LBB15_1518:
	s_delay_alu instid0(SALU_CYCLE_1)
	s_and_not1_b32 vcc_lo, exec_lo, s11
	s_cbranch_vccnz .LBB15_1520
; %bb.1519:
	s_wait_loadcnt 0x0
	global_load_b32 v1, v[14:15], off
	s_wait_loadcnt 0x0
	v_cvt_f32_f16_e32 v1, v1
.LBB15_1520:
	s_mov_b32 s11, 0
.LBB15_1521:
	s_delay_alu instid0(SALU_CYCLE_1)
	s_and_not1_b32 vcc_lo, exec_lo, s11
	s_cbranch_vccnz .LBB15_1532
; %bb.1522:
	s_cmp_lt_i32 s10, 6
	s_cbranch_scc1 .LBB15_1525
; %bb.1523:
	s_cmp_gt_i32 s10, 6
	s_cbranch_scc0 .LBB15_1526
; %bb.1524:
	global_load_b64 v[16:17], v[14:15], off
	s_mov_b32 s11, 0
	s_wait_loadcnt 0x0
	v_cvt_f32_f64_e32 v1, v[16:17]
	s_branch .LBB15_1527
.LBB15_1525:
	s_mov_b32 s11, -1
                                        ; implicit-def: $vgpr1
	s_branch .LBB15_1530
.LBB15_1526:
	s_mov_b32 s11, -1
                                        ; implicit-def: $vgpr1
.LBB15_1527:
	s_delay_alu instid0(SALU_CYCLE_1)
	s_and_not1_b32 vcc_lo, exec_lo, s11
	s_cbranch_vccnz .LBB15_1529
; %bb.1528:
	s_wait_loadcnt 0x0
	global_load_b32 v1, v[14:15], off
.LBB15_1529:
	s_mov_b32 s11, 0
.LBB15_1530:
	s_delay_alu instid0(SALU_CYCLE_1)
	s_and_not1_b32 vcc_lo, exec_lo, s11
	s_cbranch_vccnz .LBB15_1532
; %bb.1531:
	s_wait_loadcnt 0x0
	global_load_u16 v1, v[14:15], off
	s_wait_loadcnt 0x0
	v_cvt_f32_f16_e32 v1, v1
.LBB15_1532:
	s_mov_b32 s11, 0
.LBB15_1533:
	s_delay_alu instid0(SALU_CYCLE_1)
	s_and_not1_b32 vcc_lo, exec_lo, s11
	s_cbranch_vccnz .LBB15_1553
; %bb.1534:
	s_cmp_lt_i32 s10, 2
	s_cbranch_scc1 .LBB15_1538
; %bb.1535:
	s_cmp_lt_i32 s10, 3
	s_cbranch_scc1 .LBB15_1539
; %bb.1536:
	s_cmp_gt_i32 s10, 3
	s_cbranch_scc0 .LBB15_1540
; %bb.1537:
	global_load_b64 v[16:17], v[14:15], off
	s_mov_b32 s11, 0
	s_wait_loadcnt 0x0
	v_xor_b32_e32 v1, v16, v17
	v_cls_i32_e32 v3, v17
	s_delay_alu instid0(VALU_DEP_2) | instskip(NEXT) | instid1(VALU_DEP_1)
	v_ashrrev_i32_e32 v1, 31, v1
	v_add_nc_u32_e32 v1, 32, v1
	s_delay_alu instid0(VALU_DEP_1) | instskip(NEXT) | instid1(VALU_DEP_1)
	v_add_min_u32_e64 v1, v3, -1, v1
	v_lshlrev_b64_e32 v[16:17], v1, v[16:17]
	v_sub_nc_u32_e32 v1, 32, v1
	s_delay_alu instid0(VALU_DEP_2) | instskip(NEXT) | instid1(VALU_DEP_1)
	v_min_u32_e32 v3, 1, v16
	v_or_b32_e32 v3, v17, v3
	s_delay_alu instid0(VALU_DEP_1) | instskip(NEXT) | instid1(VALU_DEP_1)
	v_cvt_f32_i32_e32 v3, v3
	v_ldexp_f32 v1, v3, v1
	s_branch .LBB15_1541
.LBB15_1538:
	s_mov_b32 s11, -1
                                        ; implicit-def: $vgpr1
	s_branch .LBB15_1547
.LBB15_1539:
	s_mov_b32 s11, -1
                                        ; implicit-def: $vgpr1
	s_branch .LBB15_1544
.LBB15_1540:
	s_mov_b32 s11, -1
                                        ; implicit-def: $vgpr1
.LBB15_1541:
	s_delay_alu instid0(SALU_CYCLE_1)
	s_and_not1_b32 vcc_lo, exec_lo, s11
	s_cbranch_vccnz .LBB15_1543
; %bb.1542:
	s_wait_loadcnt 0x0
	global_load_b32 v1, v[14:15], off
	s_wait_loadcnt 0x0
	v_cvt_f32_i32_e32 v1, v1
.LBB15_1543:
	s_mov_b32 s11, 0
.LBB15_1544:
	s_delay_alu instid0(SALU_CYCLE_1)
	s_and_not1_b32 vcc_lo, exec_lo, s11
	s_cbranch_vccnz .LBB15_1546
; %bb.1545:
	s_wait_loadcnt 0x0
	global_load_i16 v1, v[14:15], off
	s_wait_loadcnt 0x0
	v_cvt_f32_i32_e32 v1, v1
.LBB15_1546:
	s_mov_b32 s11, 0
.LBB15_1547:
	s_delay_alu instid0(SALU_CYCLE_1)
	s_and_not1_b32 vcc_lo, exec_lo, s11
	s_cbranch_vccnz .LBB15_1553
; %bb.1548:
	s_cmp_gt_i32 s10, 0
	s_mov_b32 s11, 0
	s_cbranch_scc0 .LBB15_1550
; %bb.1549:
	s_wait_loadcnt 0x0
	global_load_i8 v1, v[14:15], off
	s_wait_loadcnt 0x0
	v_cvt_f32_i32_e32 v1, v1
	s_branch .LBB15_1551
.LBB15_1550:
	s_mov_b32 s11, -1
                                        ; implicit-def: $vgpr1
.LBB15_1551:
	s_delay_alu instid0(SALU_CYCLE_1)
	s_and_not1_b32 vcc_lo, exec_lo, s11
	s_cbranch_vccnz .LBB15_1553
; %bb.1552:
	s_wait_loadcnt 0x0
	global_load_u8 v1, v[14:15], off
	s_wait_loadcnt 0x0
	v_cvt_f32_ubyte0_e32 v1, v1
.LBB15_1553:
.LBB15_1554:
	s_wait_xcnt 0x0
	v_mov_b32_e32 v14, 1.0
	s_mov_b32 s11, exec_lo
	s_wait_loadcnt 0x0
	s_delay_alu instid0(VALU_DEP_2)
	v_cmpx_lt_f32_e32 s0, v1
	s_cbranch_execz .LBB15_1556
; %bb.1555:
	v_add_f32_e32 v1, 0x33d6bf95, v1
	s_delay_alu instid0(VALU_DEP_1) | instskip(NEXT) | instid1(VALU_DEP_1)
	v_div_scale_f32 v3, null, v1, v1, s0
	v_rcp_f32_e32 v5, v3
	v_nop
	s_delay_alu instid0(TRANS32_DEP_1) | instskip(NEXT) | instid1(VALU_DEP_1)
	v_fma_f32 v7, -v3, v5, 1.0
	v_fmac_f32_e32 v5, v7, v5
	v_div_scale_f32 v7, vcc_lo, s0, v1, s0
	s_delay_alu instid0(VALU_DEP_1) | instskip(NEXT) | instid1(VALU_DEP_1)
	v_mul_f32_e32 v9, v7, v5
	v_fma_f32 v11, -v3, v9, v7
	s_delay_alu instid0(VALU_DEP_1) | instskip(NEXT) | instid1(VALU_DEP_1)
	v_fmac_f32_e32 v9, v11, v5
	v_fma_f32 v3, -v3, v9, v7
	s_delay_alu instid0(VALU_DEP_1) | instskip(NEXT) | instid1(VALU_DEP_1)
	v_div_fmas_f32 v3, v3, v5, v9
	v_div_fixup_f32 v14, v3, v1, s0
.LBB15_1556:
	s_or_b32 exec_lo, exec_lo, s11
	v_mov_b32_e32 v9, 0
	s_cmp_lt_i32 s10, 11
	s_delay_alu instid0(VALU_DEP_1)
	v_add_nc_u64_e32 v[8:9], s[6:7], v[8:9]
	s_cbranch_scc1 .LBB15_1563
; %bb.1557:
	s_cmp_gt_i32 s10, 25
	s_mov_b32 s7, 0
	s_cbranch_scc0 .LBB15_1564
; %bb.1558:
	s_cmp_gt_i32 s10, 28
	s_cbranch_scc0 .LBB15_1565
; %bb.1559:
	s_cmp_gt_i32 s10, 43
	;; [unrolled: 3-line block ×3, first 2 shown]
	s_cbranch_scc0 .LBB15_1568
; %bb.1561:
	s_cmp_eq_u32 s10, 46
	s_mov_b32 s12, 0
	s_cbranch_scc0 .LBB15_1569
; %bb.1562:
	global_load_b32 v1, v[8:9], off
	s_mov_b32 s6, 0
	s_mov_b32 s11, -1
	s_wait_loadcnt 0x0
	v_lshlrev_b32_e32 v1, 16, v1
	s_branch .LBB15_1571
.LBB15_1563:
	s_mov_b32 s6, -1
	s_mov_b32 s11, 0
                                        ; implicit-def: $vgpr1
	s_branch .LBB15_1637
.LBB15_1564:
	s_mov_b32 s12, -1
	s_mov_b32 s11, 0
	s_mov_b32 s6, 0
                                        ; implicit-def: $vgpr1
	s_branch .LBB15_1600
.LBB15_1565:
	s_mov_b32 s12, -1
	s_mov_b32 s11, 0
	s_mov_b32 s6, 0
                                        ; implicit-def: $vgpr1
	s_branch .LBB15_1581
.LBB15_1566:
	s_mov_b32 s12, -1
	s_mov_b32 s11, 0
	s_mov_b32 s6, 0
                                        ; implicit-def: $vgpr1
	s_branch .LBB15_1576
.LBB15_1567:
	s_or_b32 s1, s1, exec_lo
	s_trap 2
	s_cbranch_execz .LBB15_1504
	s_branch .LBB15_1505
.LBB15_1568:
	s_mov_b32 s12, -1
	s_mov_b32 s11, 0
	s_mov_b32 s6, 0
	s_branch .LBB15_1570
.LBB15_1569:
	s_mov_b32 s6, -1
	s_mov_b32 s11, 0
.LBB15_1570:
                                        ; implicit-def: $vgpr1
.LBB15_1571:
	s_and_b32 vcc_lo, exec_lo, s12
	s_cbranch_vccz .LBB15_1575
; %bb.1572:
	s_cmp_eq_u32 s10, 44
	s_cbranch_scc0 .LBB15_1574
; %bb.1573:
	global_load_u8 v1, v[8:9], off
	s_mov_b32 s6, 0
	s_mov_b32 s11, -1
	s_wait_loadcnt 0x0
	v_lshlrev_b32_e32 v3, 23, v1
	v_cmp_ne_u32_e32 vcc_lo, 0xff, v1
	s_delay_alu instid0(VALU_DEP_2) | instskip(SKIP_1) | instid1(VALU_DEP_2)
	v_cndmask_b32_e32 v3, 0x7f800001, v3, vcc_lo
	v_cmp_ne_u32_e32 vcc_lo, 0, v1
	v_cndmask_b32_e32 v1, 0x400000, v3, vcc_lo
	s_branch .LBB15_1575
.LBB15_1574:
	s_mov_b32 s6, -1
                                        ; implicit-def: $vgpr1
.LBB15_1575:
	s_mov_b32 s12, 0
.LBB15_1576:
	s_delay_alu instid0(SALU_CYCLE_1)
	s_and_b32 vcc_lo, exec_lo, s12
	s_cbranch_vccz .LBB15_1580
; %bb.1577:
	s_cmp_eq_u32 s10, 29
	s_cbranch_scc0 .LBB15_1579
; %bb.1578:
	global_load_b64 v[16:17], v[8:9], off
	s_mov_b32 s6, 0
	s_mov_b32 s11, -1
	s_mov_b32 s12, 0
	s_wait_loadcnt 0x0
	v_clz_i32_u32_e32 v1, v17
	s_delay_alu instid0(VALU_DEP_1) | instskip(NEXT) | instid1(VALU_DEP_1)
	v_min_u32_e32 v1, 32, v1
	v_lshlrev_b64_e32 v[16:17], v1, v[16:17]
	v_sub_nc_u32_e32 v1, 32, v1
	s_delay_alu instid0(VALU_DEP_2) | instskip(NEXT) | instid1(VALU_DEP_1)
	v_min_u32_e32 v3, 1, v16
	v_or_b32_e32 v3, v17, v3
	s_delay_alu instid0(VALU_DEP_1) | instskip(NEXT) | instid1(VALU_DEP_1)
	v_cvt_f32_u32_e32 v3, v3
	v_ldexp_f32 v1, v3, v1
	s_branch .LBB15_1581
.LBB15_1579:
	s_mov_b32 s6, -1
                                        ; implicit-def: $vgpr1
.LBB15_1580:
	s_mov_b32 s12, 0
.LBB15_1581:
	s_delay_alu instid0(SALU_CYCLE_1)
	s_and_b32 vcc_lo, exec_lo, s12
	s_cbranch_vccz .LBB15_1599
; %bb.1582:
	s_cmp_lt_i32 s10, 27
	s_cbranch_scc1 .LBB15_1585
; %bb.1583:
	s_cmp_gt_i32 s10, 27
	s_cbranch_scc0 .LBB15_1586
; %bb.1584:
	global_load_b32 v1, v[8:9], off
	s_mov_b32 s11, 0
	s_wait_loadcnt 0x0
	v_cvt_f32_u32_e32 v1, v1
	s_branch .LBB15_1587
.LBB15_1585:
	s_mov_b32 s11, -1
                                        ; implicit-def: $vgpr1
	s_branch .LBB15_1590
.LBB15_1586:
	s_mov_b32 s11, -1
                                        ; implicit-def: $vgpr1
.LBB15_1587:
	s_delay_alu instid0(SALU_CYCLE_1)
	s_and_not1_b32 vcc_lo, exec_lo, s11
	s_cbranch_vccnz .LBB15_1589
; %bb.1588:
	global_load_u16 v1, v[8:9], off
	s_wait_loadcnt 0x0
	v_cvt_f32_u32_e32 v1, v1
.LBB15_1589:
	s_mov_b32 s11, 0
.LBB15_1590:
	s_delay_alu instid0(SALU_CYCLE_1)
	s_and_not1_b32 vcc_lo, exec_lo, s11
	s_cbranch_vccnz .LBB15_1598
; %bb.1591:
	global_load_u8 v3, v[8:9], off
	s_mov_b32 s11, 0
	s_mov_b32 s12, exec_lo
	s_wait_loadcnt 0x0
	v_cmpx_lt_i16_e32 0x7f, v3
	s_xor_b32 s12, exec_lo, s12
	s_cbranch_execz .LBB15_1612
; %bb.1592:
	s_mov_b32 s11, -1
	s_mov_b32 s13, exec_lo
	v_cmpx_eq_u16_e32 0x80, v3
; %bb.1593:
	s_xor_b32 s11, exec_lo, -1
; %bb.1594:
	s_or_b32 exec_lo, exec_lo, s13
	s_delay_alu instid0(SALU_CYCLE_1)
	s_and_b32 s11, s11, exec_lo
	s_or_saveexec_b32 s12, s12
	v_mov_b32_e32 v1, 0x7f800001
	s_xor_b32 exec_lo, exec_lo, s12
	s_cbranch_execnz .LBB15_1613
.LBB15_1595:
	s_or_b32 exec_lo, exec_lo, s12
	s_and_saveexec_b32 s12, s11
	s_cbranch_execz .LBB15_1597
.LBB15_1596:
	v_and_b32_e32 v1, 0xffff, v3
	s_delay_alu instid0(VALU_DEP_1) | instskip(SKIP_1) | instid1(VALU_DEP_2)
	v_and_b32_e32 v5, 7, v1
	v_bfe_u32 v13, v1, 3, 4
	v_clz_i32_u32_e32 v7, v5
	s_delay_alu instid0(VALU_DEP_2) | instskip(NEXT) | instid1(VALU_DEP_2)
	v_cmp_eq_u32_e32 vcc_lo, 0, v13
	v_min_u32_e32 v7, 32, v7
	s_delay_alu instid0(VALU_DEP_1) | instskip(NEXT) | instid1(VALU_DEP_1)
	v_subrev_nc_u32_e32 v11, 28, v7
	v_dual_lshlrev_b32 v1, v11, v1 :: v_dual_sub_nc_u32 v7, 29, v7
	s_delay_alu instid0(VALU_DEP_1) | instskip(NEXT) | instid1(VALU_DEP_1)
	v_dual_lshlrev_b32 v3, 24, v3 :: v_dual_bitop2_b32 v1, 7, v1 bitop3:0x40
	v_cndmask_b32_e32 v1, v5, v1, vcc_lo
	s_delay_alu instid0(VALU_DEP_3) | instskip(NEXT) | instid1(VALU_DEP_3)
	v_cndmask_b32_e32 v7, v13, v7, vcc_lo
	v_and_b32_e32 v3, 0x80000000, v3
	s_delay_alu instid0(VALU_DEP_3) | instskip(NEXT) | instid1(VALU_DEP_3)
	v_lshlrev_b32_e32 v1, 20, v1
	v_lshl_add_u32 v5, v7, 23, 0x3b800000
	s_delay_alu instid0(VALU_DEP_1)
	v_or3_b32 v1, v3, v5, v1
.LBB15_1597:
	s_or_b32 exec_lo, exec_lo, s12
.LBB15_1598:
	s_mov_b32 s11, -1
.LBB15_1599:
	s_mov_b32 s12, 0
.LBB15_1600:
	s_delay_alu instid0(SALU_CYCLE_1)
	s_and_b32 vcc_lo, exec_lo, s12
	s_cbranch_vccz .LBB15_1633
; %bb.1601:
	s_cmp_gt_i32 s10, 22
	s_cbranch_scc0 .LBB15_1611
; %bb.1602:
	s_cmp_lt_i32 s10, 24
	s_cbranch_scc1 .LBB15_1614
; %bb.1603:
	s_cmp_gt_i32 s10, 24
	s_cbranch_scc0 .LBB15_1615
; %bb.1604:
	global_load_u8 v3, v[8:9], off
	s_mov_b32 s11, exec_lo
	s_wait_loadcnt 0x0
	v_cmpx_lt_i16_e32 0x7f, v3
	s_xor_b32 s11, exec_lo, s11
	s_cbranch_execz .LBB15_1627
; %bb.1605:
	s_mov_b32 s7, -1
	s_mov_b32 s12, exec_lo
	v_cmpx_eq_u16_e32 0x80, v3
; %bb.1606:
	s_xor_b32 s7, exec_lo, -1
; %bb.1607:
	s_or_b32 exec_lo, exec_lo, s12
	s_delay_alu instid0(SALU_CYCLE_1)
	s_and_b32 s7, s7, exec_lo
	s_or_saveexec_b32 s11, s11
	v_mov_b32_e32 v1, 0x7f800001
	s_xor_b32 exec_lo, exec_lo, s11
	s_cbranch_execnz .LBB15_1628
.LBB15_1608:
	s_or_b32 exec_lo, exec_lo, s11
	s_and_saveexec_b32 s11, s7
	s_cbranch_execz .LBB15_1610
.LBB15_1609:
	v_and_b32_e32 v1, 0xffff, v3
	s_delay_alu instid0(VALU_DEP_1) | instskip(SKIP_1) | instid1(VALU_DEP_2)
	v_and_b32_e32 v5, 3, v1
	v_bfe_u32 v13, v1, 2, 5
	v_clz_i32_u32_e32 v7, v5
	s_delay_alu instid0(VALU_DEP_2) | instskip(NEXT) | instid1(VALU_DEP_2)
	v_cmp_eq_u32_e32 vcc_lo, 0, v13
	v_min_u32_e32 v7, 32, v7
	s_delay_alu instid0(VALU_DEP_1) | instskip(NEXT) | instid1(VALU_DEP_1)
	v_subrev_nc_u32_e32 v11, 29, v7
	v_dual_lshlrev_b32 v1, v11, v1 :: v_dual_sub_nc_u32 v7, 30, v7
	s_delay_alu instid0(VALU_DEP_1) | instskip(NEXT) | instid1(VALU_DEP_1)
	v_dual_lshlrev_b32 v3, 24, v3 :: v_dual_bitop2_b32 v1, 3, v1 bitop3:0x40
	v_cndmask_b32_e32 v1, v5, v1, vcc_lo
	s_delay_alu instid0(VALU_DEP_3) | instskip(NEXT) | instid1(VALU_DEP_3)
	v_cndmask_b32_e32 v7, v13, v7, vcc_lo
	v_and_b32_e32 v3, 0x80000000, v3
	s_delay_alu instid0(VALU_DEP_3) | instskip(NEXT) | instid1(VALU_DEP_3)
	v_lshlrev_b32_e32 v1, 21, v1
	v_lshl_add_u32 v5, v7, 23, 0x37800000
	s_delay_alu instid0(VALU_DEP_1)
	v_or3_b32 v1, v3, v5, v1
.LBB15_1610:
	s_or_b32 exec_lo, exec_lo, s11
	s_mov_b32 s7, 0
	s_branch .LBB15_1616
.LBB15_1611:
	s_mov_b32 s7, -1
                                        ; implicit-def: $vgpr1
	s_branch .LBB15_1622
.LBB15_1612:
	s_or_saveexec_b32 s12, s12
	v_mov_b32_e32 v1, 0x7f800001
	s_xor_b32 exec_lo, exec_lo, s12
	s_cbranch_execz .LBB15_1595
.LBB15_1613:
	v_cmp_ne_u16_e32 vcc_lo, 0, v3
	v_mov_b32_e32 v1, 0
	s_and_not1_b32 s11, s11, exec_lo
	s_and_b32 s13, vcc_lo, exec_lo
	s_delay_alu instid0(SALU_CYCLE_1)
	s_or_b32 s11, s11, s13
	s_or_b32 exec_lo, exec_lo, s12
	s_and_saveexec_b32 s12, s11
	s_cbranch_execnz .LBB15_1596
	s_branch .LBB15_1597
.LBB15_1614:
	s_mov_b32 s7, -1
                                        ; implicit-def: $vgpr1
	s_branch .LBB15_1619
.LBB15_1615:
	s_mov_b32 s7, -1
                                        ; implicit-def: $vgpr1
.LBB15_1616:
	s_delay_alu instid0(SALU_CYCLE_1)
	s_and_b32 vcc_lo, exec_lo, s7
	s_cbranch_vccz .LBB15_1618
; %bb.1617:
	global_load_u8 v1, v[8:9], off
	s_wait_loadcnt 0x0
	v_lshlrev_b32_e32 v1, 24, v1
	s_delay_alu instid0(VALU_DEP_1) | instskip(NEXT) | instid1(VALU_DEP_1)
	v_and_b32_e32 v3, 0x7f000000, v1
	v_clz_i32_u32_e32 v5, v3
	v_add_nc_u32_e32 v11, 0x1000000, v3
	v_cmp_ne_u32_e32 vcc_lo, 0, v3
	s_delay_alu instid0(VALU_DEP_3) | instskip(NEXT) | instid1(VALU_DEP_1)
	v_min_u32_e32 v5, 32, v5
	v_sub_nc_u32_e64 v5, v5, 4 clamp
	s_delay_alu instid0(VALU_DEP_1) | instskip(NEXT) | instid1(VALU_DEP_1)
	v_dual_lshlrev_b32 v7, v5, v3 :: v_dual_lshlrev_b32 v5, 23, v5
	v_lshrrev_b32_e32 v7, 4, v7
	s_delay_alu instid0(VALU_DEP_1) | instskip(NEXT) | instid1(VALU_DEP_1)
	v_dual_sub_nc_u32 v5, v7, v5 :: v_dual_ashrrev_i32 v7, 8, v11
	v_add_nc_u32_e32 v5, 0x3c000000, v5
	s_delay_alu instid0(VALU_DEP_1) | instskip(NEXT) | instid1(VALU_DEP_1)
	v_and_or_b32 v5, 0x7f800000, v7, v5
	v_cndmask_b32_e32 v3, 0, v5, vcc_lo
	s_delay_alu instid0(VALU_DEP_1)
	v_and_or_b32 v1, 0x80000000, v1, v3
.LBB15_1618:
	s_mov_b32 s7, 0
.LBB15_1619:
	s_delay_alu instid0(SALU_CYCLE_1)
	s_and_not1_b32 vcc_lo, exec_lo, s7
	s_cbranch_vccnz .LBB15_1621
; %bb.1620:
	global_load_u8 v1, v[8:9], off
	s_wait_loadcnt 0x0
	v_lshlrev_b32_e32 v3, 25, v1
	v_lshlrev_b16 v1, 8, v1
	s_delay_alu instid0(VALU_DEP_1) | instskip(SKIP_1) | instid1(VALU_DEP_2)
	v_and_or_b32 v7, 0x7f00, v1, 0.5
	v_bfe_i32 v1, v1, 0, 16
	v_add_f32_e32 v7, -0.5, v7
	v_lshrrev_b32_e32 v5, 4, v3
	v_cmp_gt_u32_e32 vcc_lo, 0x8000000, v3
	s_delay_alu instid0(VALU_DEP_2) | instskip(NEXT) | instid1(VALU_DEP_1)
	v_or_b32_e32 v5, 0x70000000, v5
	v_mul_f32_e32 v5, 0x7800000, v5
	s_delay_alu instid0(VALU_DEP_1) | instskip(NEXT) | instid1(VALU_DEP_1)
	v_cndmask_b32_e32 v3, v5, v7, vcc_lo
	v_and_or_b32 v1, 0x80000000, v1, v3
.LBB15_1621:
	s_mov_b32 s7, 0
	s_mov_b32 s11, -1
.LBB15_1622:
	s_and_not1_b32 vcc_lo, exec_lo, s7
	s_mov_b32 s7, 0
	s_cbranch_vccnz .LBB15_1633
; %bb.1623:
	s_cmp_gt_i32 s10, 14
	s_cbranch_scc0 .LBB15_1626
; %bb.1624:
	s_cmp_eq_u32 s10, 15
	s_cbranch_scc0 .LBB15_1629
; %bb.1625:
	global_load_u16 v1, v[8:9], off
	s_mov_b32 s6, 0
	s_mov_b32 s11, -1
	s_wait_loadcnt 0x0
	v_lshlrev_b32_e32 v1, 16, v1
	s_branch .LBB15_1631
.LBB15_1626:
	s_mov_b32 s7, -1
	s_branch .LBB15_1630
.LBB15_1627:
	s_or_saveexec_b32 s11, s11
	v_mov_b32_e32 v1, 0x7f800001
	s_xor_b32 exec_lo, exec_lo, s11
	s_cbranch_execz .LBB15_1608
.LBB15_1628:
	v_cmp_ne_u16_e32 vcc_lo, 0, v3
	v_mov_b32_e32 v1, 0
	s_and_not1_b32 s7, s7, exec_lo
	s_and_b32 s12, vcc_lo, exec_lo
	s_delay_alu instid0(SALU_CYCLE_1)
	s_or_b32 s7, s7, s12
	s_or_b32 exec_lo, exec_lo, s11
	s_and_saveexec_b32 s11, s7
	s_cbranch_execnz .LBB15_1609
	s_branch .LBB15_1610
.LBB15_1629:
	s_mov_b32 s6, -1
.LBB15_1630:
                                        ; implicit-def: $vgpr1
.LBB15_1631:
	s_and_b32 vcc_lo, exec_lo, s7
	s_mov_b32 s7, 0
	s_cbranch_vccz .LBB15_1633
; %bb.1632:
	s_cmp_lg_u32 s10, 11
	s_mov_b32 s7, -1
	s_cselect_b32 s6, -1, 0
.LBB15_1633:
	s_delay_alu instid0(SALU_CYCLE_1)
	s_and_b32 vcc_lo, exec_lo, s6
	s_cbranch_vccnz .LBB15_2169
; %bb.1634:
	s_and_not1_b32 vcc_lo, exec_lo, s7
	s_cbranch_vccnz .LBB15_1636
.LBB15_1635:
	global_load_u8 v1, v[8:9], off
	s_mov_b32 s11, -1
	s_wait_loadcnt 0x0
	v_cmp_ne_u16_e32 vcc_lo, 0, v1
	v_cndmask_b32_e64 v1, 0, 1.0, vcc_lo
.LBB15_1636:
	s_mov_b32 s6, 0
.LBB15_1637:
	s_delay_alu instid0(SALU_CYCLE_1)
	s_and_b32 vcc_lo, exec_lo, s6
	s_cbranch_vccz .LBB15_1686
; %bb.1638:
	s_cmp_lt_i32 s10, 5
	s_cbranch_scc1 .LBB15_1643
; %bb.1639:
	s_cmp_lt_i32 s10, 8
	s_cbranch_scc1 .LBB15_1644
	;; [unrolled: 3-line block ×3, first 2 shown]
; %bb.1641:
	s_cmp_gt_i32 s10, 9
	s_cbranch_scc0 .LBB15_1646
; %bb.1642:
	global_load_b64 v[16:17], v[8:9], off
	s_mov_b32 s6, 0
	s_wait_loadcnt 0x0
	v_cvt_f32_f64_e32 v1, v[16:17]
	s_branch .LBB15_1647
.LBB15_1643:
	s_mov_b32 s6, -1
                                        ; implicit-def: $vgpr1
	s_branch .LBB15_1665
.LBB15_1644:
	s_mov_b32 s6, -1
                                        ; implicit-def: $vgpr1
	s_branch .LBB15_1653
.LBB15_1645:
	s_mov_b32 s6, -1
                                        ; implicit-def: $vgpr1
	s_branch .LBB15_1650
.LBB15_1646:
	s_mov_b32 s6, -1
                                        ; implicit-def: $vgpr1
.LBB15_1647:
	s_delay_alu instid0(SALU_CYCLE_1)
	s_and_not1_b32 vcc_lo, exec_lo, s6
	s_cbranch_vccnz .LBB15_1649
; %bb.1648:
	global_load_b32 v1, v[8:9], off
.LBB15_1649:
	s_mov_b32 s6, 0
.LBB15_1650:
	s_delay_alu instid0(SALU_CYCLE_1)
	s_and_not1_b32 vcc_lo, exec_lo, s6
	s_cbranch_vccnz .LBB15_1652
; %bb.1651:
	s_wait_loadcnt 0x0
	global_load_b32 v1, v[8:9], off
	s_wait_loadcnt 0x0
	v_cvt_f32_f16_e32 v1, v1
.LBB15_1652:
	s_mov_b32 s6, 0
.LBB15_1653:
	s_delay_alu instid0(SALU_CYCLE_1)
	s_and_not1_b32 vcc_lo, exec_lo, s6
	s_cbranch_vccnz .LBB15_1664
; %bb.1654:
	s_cmp_lt_i32 s10, 6
	s_cbranch_scc1 .LBB15_1657
; %bb.1655:
	s_cmp_gt_i32 s10, 6
	s_cbranch_scc0 .LBB15_1658
; %bb.1656:
	global_load_b64 v[16:17], v[8:9], off
	s_mov_b32 s6, 0
	s_wait_loadcnt 0x0
	v_cvt_f32_f64_e32 v1, v[16:17]
	s_branch .LBB15_1659
.LBB15_1657:
	s_mov_b32 s6, -1
                                        ; implicit-def: $vgpr1
	s_branch .LBB15_1662
.LBB15_1658:
	s_mov_b32 s6, -1
                                        ; implicit-def: $vgpr1
.LBB15_1659:
	s_delay_alu instid0(SALU_CYCLE_1)
	s_and_not1_b32 vcc_lo, exec_lo, s6
	s_cbranch_vccnz .LBB15_1661
; %bb.1660:
	s_wait_loadcnt 0x0
	global_load_b32 v1, v[8:9], off
.LBB15_1661:
	s_mov_b32 s6, 0
.LBB15_1662:
	s_delay_alu instid0(SALU_CYCLE_1)
	s_and_not1_b32 vcc_lo, exec_lo, s6
	s_cbranch_vccnz .LBB15_1664
; %bb.1663:
	s_wait_loadcnt 0x0
	global_load_u16 v1, v[8:9], off
	s_wait_loadcnt 0x0
	v_cvt_f32_f16_e32 v1, v1
.LBB15_1664:
	s_mov_b32 s6, 0
.LBB15_1665:
	s_delay_alu instid0(SALU_CYCLE_1)
	s_and_not1_b32 vcc_lo, exec_lo, s6
	s_cbranch_vccnz .LBB15_1685
; %bb.1666:
	s_cmp_lt_i32 s10, 2
	s_cbranch_scc1 .LBB15_1670
; %bb.1667:
	s_cmp_lt_i32 s10, 3
	s_cbranch_scc1 .LBB15_1671
; %bb.1668:
	s_cmp_gt_i32 s10, 3
	s_cbranch_scc0 .LBB15_1672
; %bb.1669:
	global_load_b64 v[16:17], v[8:9], off
	s_mov_b32 s6, 0
	s_wait_loadcnt 0x0
	v_xor_b32_e32 v1, v16, v17
	v_cls_i32_e32 v3, v17
	s_delay_alu instid0(VALU_DEP_2) | instskip(NEXT) | instid1(VALU_DEP_1)
	v_ashrrev_i32_e32 v1, 31, v1
	v_add_nc_u32_e32 v1, 32, v1
	s_delay_alu instid0(VALU_DEP_1) | instskip(NEXT) | instid1(VALU_DEP_1)
	v_add_min_u32_e64 v1, v3, -1, v1
	v_lshlrev_b64_e32 v[16:17], v1, v[16:17]
	v_sub_nc_u32_e32 v1, 32, v1
	s_delay_alu instid0(VALU_DEP_2) | instskip(NEXT) | instid1(VALU_DEP_1)
	v_min_u32_e32 v3, 1, v16
	v_or_b32_e32 v3, v17, v3
	s_delay_alu instid0(VALU_DEP_1) | instskip(NEXT) | instid1(VALU_DEP_1)
	v_cvt_f32_i32_e32 v3, v3
	v_ldexp_f32 v1, v3, v1
	s_branch .LBB15_1673
.LBB15_1670:
	s_mov_b32 s6, -1
                                        ; implicit-def: $vgpr1
	s_branch .LBB15_1679
.LBB15_1671:
	s_mov_b32 s6, -1
                                        ; implicit-def: $vgpr1
	s_branch .LBB15_1676
.LBB15_1672:
	s_mov_b32 s6, -1
                                        ; implicit-def: $vgpr1
.LBB15_1673:
	s_delay_alu instid0(SALU_CYCLE_1)
	s_and_not1_b32 vcc_lo, exec_lo, s6
	s_cbranch_vccnz .LBB15_1675
; %bb.1674:
	s_wait_loadcnt 0x0
	global_load_b32 v1, v[8:9], off
	s_wait_loadcnt 0x0
	v_cvt_f32_i32_e32 v1, v1
.LBB15_1675:
	s_mov_b32 s6, 0
.LBB15_1676:
	s_delay_alu instid0(SALU_CYCLE_1)
	s_and_not1_b32 vcc_lo, exec_lo, s6
	s_cbranch_vccnz .LBB15_1678
; %bb.1677:
	s_wait_loadcnt 0x0
	global_load_i16 v1, v[8:9], off
	s_wait_loadcnt 0x0
	v_cvt_f32_i32_e32 v1, v1
.LBB15_1678:
	s_mov_b32 s6, 0
.LBB15_1679:
	s_delay_alu instid0(SALU_CYCLE_1)
	s_and_not1_b32 vcc_lo, exec_lo, s6
	s_cbranch_vccnz .LBB15_1685
; %bb.1680:
	s_cmp_gt_i32 s10, 0
	s_mov_b32 s6, 0
	s_cbranch_scc0 .LBB15_1682
; %bb.1681:
	s_wait_loadcnt 0x0
	global_load_i8 v1, v[8:9], off
	s_wait_loadcnt 0x0
	v_cvt_f32_i32_e32 v1, v1
	s_branch .LBB15_1683
.LBB15_1682:
	s_mov_b32 s6, -1
                                        ; implicit-def: $vgpr1
.LBB15_1683:
	s_delay_alu instid0(SALU_CYCLE_1)
	s_and_not1_b32 vcc_lo, exec_lo, s6
	s_cbranch_vccnz .LBB15_1685
; %bb.1684:
	s_wait_loadcnt 0x0
	global_load_u8 v1, v[8:9], off
	s_wait_loadcnt 0x0
	v_cvt_f32_ubyte0_e32 v1, v1
.LBB15_1685:
	s_mov_b32 s11, -1
.LBB15_1686:
	s_delay_alu instid0(SALU_CYCLE_1)
	s_and_not1_b32 vcc_lo, exec_lo, s11
	s_cbranch_vccnz .LBB15_1767
; %bb.1687:
	s_wait_xcnt 0x0
	v_mov_b32_e32 v8, 1.0
	s_mov_b32 s6, exec_lo
	s_wait_loadcnt 0x0
	s_delay_alu instid0(VALU_DEP_2)
	v_cmpx_lt_f32_e32 s0, v1
	s_cbranch_execz .LBB15_1689
; %bb.1688:
	v_add_f32_e32 v1, 0x33d6bf95, v1
	s_delay_alu instid0(VALU_DEP_1) | instskip(NEXT) | instid1(VALU_DEP_1)
	v_div_scale_f32 v3, null, v1, v1, s0
	v_rcp_f32_e32 v5, v3
	v_nop
	s_delay_alu instid0(TRANS32_DEP_1) | instskip(NEXT) | instid1(VALU_DEP_1)
	v_fma_f32 v7, -v3, v5, 1.0
	v_fmac_f32_e32 v5, v7, v5
	v_div_scale_f32 v7, vcc_lo, s0, v1, s0
	s_delay_alu instid0(VALU_DEP_1) | instskip(NEXT) | instid1(VALU_DEP_1)
	v_mul_f32_e32 v8, v7, v5
	v_fma_f32 v9, -v3, v8, v7
	s_delay_alu instid0(VALU_DEP_1) | instskip(NEXT) | instid1(VALU_DEP_1)
	v_fmac_f32_e32 v8, v9, v5
	v_fma_f32 v3, -v3, v8, v7
	s_delay_alu instid0(VALU_DEP_1) | instskip(NEXT) | instid1(VALU_DEP_1)
	v_div_fmas_f32 v3, v3, v5, v8
	v_div_fixup_f32 v8, v3, v1, s0
.LBB15_1689:
	s_or_b32 exec_lo, exec_lo, s6
	s_load_b32 s0, s[2:3], 0x15c
	v_mov_b32_e32 v7, 0
	s_delay_alu instid0(VALU_DEP_1) | instskip(SKIP_2) | instid1(SALU_CYCLE_1)
	v_add_nc_u64_e32 v[6:7], s[4:5], v[6:7]
	s_wait_kmcnt 0x0
	s_and_b32 s6, s0, 0xff
	s_cmp_lt_i32 s6, 11
	s_cbranch_scc1 .LBB15_1812
; %bb.1690:
	s_and_b32 s2, 0xffff, s6
	s_mov_b32 s10, -1
	s_mov_b32 s3, 0
	s_cmp_gt_i32 s2, 25
	s_mov_b32 s7, 0
	s_mov_b32 s0, 0
	s_cbranch_scc0 .LBB15_1723
; %bb.1691:
	s_cmp_gt_i32 s2, 28
	s_cbranch_scc0 .LBB15_1706
; %bb.1692:
	s_cmp_gt_i32 s2, 43
	;; [unrolled: 3-line block ×3, first 2 shown]
	s_cbranch_scc0 .LBB15_1696
; %bb.1694:
	s_mov_b32 s0, -1
	s_mov_b32 s10, 0
	s_cmp_eq_u32 s2, 46
	s_cbranch_scc0 .LBB15_1696
; %bb.1695:
	v_bfe_u32 v1, v10, 16, 1
	v_cmp_o_f32_e32 vcc_lo, v10, v10
	s_mov_b32 s0, 0
	s_mov_b32 s7, -1
	s_delay_alu instid0(VALU_DEP_2) | instskip(NEXT) | instid1(VALU_DEP_1)
	v_add3_u32 v1, v10, v1, 0x7fff
	v_lshrrev_b32_e32 v1, 16, v1
	s_delay_alu instid0(VALU_DEP_1)
	v_cndmask_b32_e32 v1, 0x7fc0, v1, vcc_lo
	global_store_b32 v[6:7], v1, off
.LBB15_1696:
	s_and_b32 vcc_lo, exec_lo, s10
	s_cbranch_vccz .LBB15_1701
; %bb.1697:
	s_cmp_eq_u32 s2, 44
	s_mov_b32 s0, -1
	s_cbranch_scc0 .LBB15_1701
; %bb.1698:
	v_bfe_u32 v3, v10, 23, 8
	s_wait_xcnt 0x0
	v_mov_b32_e32 v1, 0xff
	s_mov_b32 s7, exec_lo
	s_delay_alu instid0(VALU_DEP_2)
	v_cmpx_ne_u32_e32 0xff, v3
	s_cbranch_execz .LBB15_1700
; %bb.1699:
	v_and_b32_e32 v1, 0x400000, v10
	v_and_or_b32 v3, 0x3fffff, v10, v3
	s_delay_alu instid0(VALU_DEP_2) | instskip(NEXT) | instid1(VALU_DEP_2)
	v_cmp_ne_u32_e32 vcc_lo, 0, v1
	v_cmp_ne_u32_e64 s0, 0, v3
	v_lshrrev_b32_e32 v1, 23, v10
	s_and_b32 s0, vcc_lo, s0
	s_delay_alu instid0(SALU_CYCLE_1) | instskip(NEXT) | instid1(VALU_DEP_1)
	v_cndmask_b32_e64 v3, 0, 1, s0
	v_add_nc_u32_e32 v1, v1, v3
.LBB15_1700:
	s_or_b32 exec_lo, exec_lo, s7
	s_mov_b32 s0, 0
	s_mov_b32 s7, -1
	global_store_b8 v[6:7], v1, off
.LBB15_1701:
	s_mov_b32 s10, 0
.LBB15_1702:
	s_delay_alu instid0(SALU_CYCLE_1)
	s_and_b32 vcc_lo, exec_lo, s10
	s_cbranch_vccz .LBB15_1705
; %bb.1703:
	s_cmp_eq_u32 s2, 29
	s_mov_b32 s0, -1
	s_cbranch_scc0 .LBB15_1705
; %bb.1704:
	s_wait_xcnt 0x0
	v_trunc_f32_e32 v1, v10
	s_mov_b32 s0, 0
	s_mov_b32 s7, -1
	s_delay_alu instid0(VALU_DEP_1) | instskip(NEXT) | instid1(VALU_DEP_1)
	v_mul_f32_e32 v3, 0x2f800000, v1
	v_floor_f32_e32 v3, v3
	s_delay_alu instid0(VALU_DEP_1) | instskip(SKIP_1) | instid1(VALU_DEP_2)
	v_fmamk_f32 v1, v3, 0xcf800000, v1
	v_cvt_u32_f32_e32 v17, v3
	v_cvt_u32_f32_e32 v16, v1
	global_store_b64 v[6:7], v[16:17], off
.LBB15_1705:
	s_mov_b32 s10, 0
.LBB15_1706:
	s_delay_alu instid0(SALU_CYCLE_1)
	s_and_b32 vcc_lo, exec_lo, s10
	s_cbranch_vccz .LBB15_1722
; %bb.1707:
	s_cmp_lt_i32 s2, 27
	s_mov_b32 s7, -1
	s_cbranch_scc1 .LBB15_1713
; %bb.1708:
	s_wait_xcnt 0x0
	v_cvt_u32_f32_e32 v1, v10
	s_cmp_gt_i32 s2, 27
	s_cbranch_scc0 .LBB15_1710
; %bb.1709:
	s_mov_b32 s7, 0
	global_store_b32 v[6:7], v1, off
.LBB15_1710:
	s_and_not1_b32 vcc_lo, exec_lo, s7
	s_cbranch_vccnz .LBB15_1712
; %bb.1711:
	global_store_b16 v[6:7], v1, off
.LBB15_1712:
	s_mov_b32 s7, 0
.LBB15_1713:
	s_delay_alu instid0(SALU_CYCLE_1)
	s_and_not1_b32 vcc_lo, exec_lo, s7
	s_cbranch_vccnz .LBB15_1721
; %bb.1714:
	s_wait_xcnt 0x0
	v_and_b32_e32 v1, 0x7fffffff, v10
	v_mov_b32_e32 v3, 0x80
	s_mov_b32 s7, exec_lo
	s_delay_alu instid0(VALU_DEP_2)
	v_cmpx_gt_u32_e32 0x43800000, v1
	s_cbranch_execz .LBB15_1720
; %bb.1715:
	v_cmp_lt_u32_e32 vcc_lo, 0x3bffffff, v1
	s_mov_b32 s10, 0
                                        ; implicit-def: $vgpr1
	s_and_saveexec_b32 s11, vcc_lo
	s_delay_alu instid0(SALU_CYCLE_1)
	s_xor_b32 s11, exec_lo, s11
	s_cbranch_execz .LBB15_2170
; %bb.1716:
	v_bfe_u32 v1, v10, 20, 1
	s_mov_b32 s10, exec_lo
	s_delay_alu instid0(VALU_DEP_1) | instskip(NEXT) | instid1(VALU_DEP_1)
	v_add3_u32 v1, v10, v1, 0x487ffff
	v_lshrrev_b32_e32 v1, 20, v1
	s_and_not1_saveexec_b32 s11, s11
	s_cbranch_execnz .LBB15_2171
.LBB15_1717:
	s_or_b32 exec_lo, exec_lo, s11
	v_mov_b32_e32 v3, 0
	s_and_saveexec_b32 s11, s10
.LBB15_1718:
	v_lshrrev_b32_e32 v3, 24, v10
	s_delay_alu instid0(VALU_DEP_1)
	v_and_or_b32 v3, 0x80, v3, v1
.LBB15_1719:
	s_or_b32 exec_lo, exec_lo, s11
.LBB15_1720:
	s_delay_alu instid0(SALU_CYCLE_1)
	s_or_b32 exec_lo, exec_lo, s7
	global_store_b8 v[6:7], v3, off
.LBB15_1721:
	s_mov_b32 s7, -1
.LBB15_1722:
	s_mov_b32 s10, 0
.LBB15_1723:
	s_delay_alu instid0(SALU_CYCLE_1)
	s_and_b32 vcc_lo, exec_lo, s10
	s_cbranch_vccz .LBB15_1763
; %bb.1724:
	s_cmp_gt_i32 s2, 22
	s_mov_b32 s3, -1
	s_cbranch_scc0 .LBB15_1756
; %bb.1725:
	s_cmp_lt_i32 s2, 24
	s_cbranch_scc1 .LBB15_1745
; %bb.1726:
	s_cmp_gt_i32 s2, 24
	s_cbranch_scc0 .LBB15_1734
; %bb.1727:
	s_wait_xcnt 0x0
	v_and_b32_e32 v1, 0x7fffffff, v10
	v_mov_b32_e32 v3, 0x80
	s_mov_b32 s3, exec_lo
	s_delay_alu instid0(VALU_DEP_2)
	v_cmpx_gt_u32_e32 0x47800000, v1
	s_cbranch_execz .LBB15_1733
; %bb.1728:
	v_cmp_lt_u32_e32 vcc_lo, 0x37ffffff, v1
	s_mov_b32 s7, 0
                                        ; implicit-def: $vgpr1
	s_and_saveexec_b32 s10, vcc_lo
	s_delay_alu instid0(SALU_CYCLE_1)
	s_xor_b32 s10, exec_lo, s10
	s_cbranch_execz .LBB15_2173
; %bb.1729:
	v_bfe_u32 v1, v10, 21, 1
	s_mov_b32 s7, exec_lo
	s_delay_alu instid0(VALU_DEP_1) | instskip(NEXT) | instid1(VALU_DEP_1)
	v_add3_u32 v1, v10, v1, 0x88fffff
	v_lshrrev_b32_e32 v1, 21, v1
	s_and_not1_saveexec_b32 s10, s10
	s_cbranch_execnz .LBB15_2174
.LBB15_1730:
	s_or_b32 exec_lo, exec_lo, s10
	v_mov_b32_e32 v3, 0
	s_and_saveexec_b32 s10, s7
.LBB15_1731:
	v_lshrrev_b32_e32 v3, 24, v10
	s_delay_alu instid0(VALU_DEP_1)
	v_and_or_b32 v3, 0x80, v3, v1
.LBB15_1732:
	s_or_b32 exec_lo, exec_lo, s10
.LBB15_1733:
	s_delay_alu instid0(SALU_CYCLE_1)
	s_or_b32 exec_lo, exec_lo, s3
	s_mov_b32 s3, 0
	global_store_b8 v[6:7], v3, off
.LBB15_1734:
	s_and_b32 vcc_lo, exec_lo, s3
	s_cbranch_vccz .LBB15_1744
; %bb.1735:
	s_wait_xcnt 0x0
	v_and_b32_e32 v3, 0x7fffffff, v10
	s_mov_b32 s3, exec_lo
                                        ; implicit-def: $vgpr1
	s_delay_alu instid0(VALU_DEP_1)
	v_cmpx_gt_u32_e32 0x43f00000, v3
	s_xor_b32 s3, exec_lo, s3
	s_cbranch_execz .LBB15_1741
; %bb.1736:
	s_mov_b32 s7, exec_lo
                                        ; implicit-def: $vgpr1
	v_cmpx_lt_u32_e32 0x3c7fffff, v3
	s_xor_b32 s7, exec_lo, s7
; %bb.1737:
	v_bfe_u32 v1, v10, 20, 1
	s_delay_alu instid0(VALU_DEP_1) | instskip(NEXT) | instid1(VALU_DEP_1)
	v_add3_u32 v1, v10, v1, 0x407ffff
	v_and_b32_e32 v3, 0xff00000, v1
	v_lshrrev_b32_e32 v1, 20, v1
	s_delay_alu instid0(VALU_DEP_2) | instskip(NEXT) | instid1(VALU_DEP_2)
	v_cmp_ne_u32_e32 vcc_lo, 0x7f00000, v3
	v_cndmask_b32_e32 v1, 0x7e, v1, vcc_lo
; %bb.1738:
	s_and_not1_saveexec_b32 s7, s7
; %bb.1739:
	v_add_f32_e64 v1, 0x46800000, |v10|
; %bb.1740:
	s_or_b32 exec_lo, exec_lo, s7
                                        ; implicit-def: $vgpr3
.LBB15_1741:
	s_and_not1_saveexec_b32 s3, s3
; %bb.1742:
	v_mov_b32_e32 v1, 0x7f
	v_cmp_lt_u32_e32 vcc_lo, 0x7f800000, v3
	s_delay_alu instid0(VALU_DEP_2)
	v_cndmask_b32_e32 v1, 0x7e, v1, vcc_lo
; %bb.1743:
	s_or_b32 exec_lo, exec_lo, s3
	v_lshrrev_b32_e32 v3, 24, v10
	s_delay_alu instid0(VALU_DEP_1)
	v_and_or_b32 v1, 0x80, v3, v1
	global_store_b8 v[6:7], v1, off
.LBB15_1744:
	s_mov_b32 s3, 0
.LBB15_1745:
	s_delay_alu instid0(SALU_CYCLE_1)
	s_and_not1_b32 vcc_lo, exec_lo, s3
	s_cbranch_vccnz .LBB15_1755
; %bb.1746:
	s_wait_xcnt 0x0
	v_and_b32_e32 v3, 0x7fffffff, v10
	s_mov_b32 s3, exec_lo
                                        ; implicit-def: $vgpr1
	s_delay_alu instid0(VALU_DEP_1)
	v_cmpx_gt_u32_e32 0x47800000, v3
	s_xor_b32 s3, exec_lo, s3
	s_cbranch_execz .LBB15_1752
; %bb.1747:
	s_mov_b32 s7, exec_lo
                                        ; implicit-def: $vgpr1
	v_cmpx_lt_u32_e32 0x387fffff, v3
	s_xor_b32 s7, exec_lo, s7
; %bb.1748:
	v_bfe_u32 v1, v10, 21, 1
	s_delay_alu instid0(VALU_DEP_1) | instskip(NEXT) | instid1(VALU_DEP_1)
	v_add3_u32 v1, v10, v1, 0x80fffff
	v_lshrrev_b32_e32 v1, 21, v1
; %bb.1749:
	s_and_not1_saveexec_b32 s7, s7
; %bb.1750:
	v_add_f32_e64 v1, 0x43000000, |v10|
; %bb.1751:
	s_or_b32 exec_lo, exec_lo, s7
                                        ; implicit-def: $vgpr3
.LBB15_1752:
	s_and_not1_saveexec_b32 s3, s3
; %bb.1753:
	v_mov_b32_e32 v1, 0x7f
	v_cmp_lt_u32_e32 vcc_lo, 0x7f800000, v3
	s_delay_alu instid0(VALU_DEP_2)
	v_cndmask_b32_e32 v1, 0x7c, v1, vcc_lo
; %bb.1754:
	s_or_b32 exec_lo, exec_lo, s3
	v_lshrrev_b32_e32 v3, 24, v10
	s_delay_alu instid0(VALU_DEP_1)
	v_and_or_b32 v1, 0x80, v3, v1
	global_store_b8 v[6:7], v1, off
.LBB15_1755:
	s_mov_b32 s3, 0
	s_mov_b32 s7, -1
.LBB15_1756:
	s_and_not1_b32 vcc_lo, exec_lo, s3
	s_mov_b32 s3, 0
	s_cbranch_vccnz .LBB15_1763
; %bb.1757:
	s_cmp_gt_i32 s2, 14
	s_mov_b32 s3, -1
	s_cbranch_scc0 .LBB15_1761
; %bb.1758:
	s_cmp_eq_u32 s2, 15
	s_mov_b32 s0, -1
	s_cbranch_scc0 .LBB15_1760
; %bb.1759:
	s_wait_xcnt 0x0
	v_bfe_u32 v1, v10, 16, 1
	v_cmp_o_f32_e32 vcc_lo, v10, v10
	s_mov_b32 s0, 0
	s_mov_b32 s7, -1
	s_delay_alu instid0(VALU_DEP_2) | instskip(NEXT) | instid1(VALU_DEP_1)
	v_add3_u32 v1, v10, v1, 0x7fff
	v_lshrrev_b32_e32 v1, 16, v1
	s_delay_alu instid0(VALU_DEP_1)
	v_cndmask_b32_e32 v1, 0x7fc0, v1, vcc_lo
	global_store_b16 v[6:7], v1, off
.LBB15_1760:
	s_mov_b32 s3, 0
.LBB15_1761:
	s_delay_alu instid0(SALU_CYCLE_1)
	s_and_b32 vcc_lo, exec_lo, s3
	s_mov_b32 s3, 0
	s_cbranch_vccz .LBB15_1763
; %bb.1762:
	s_cmp_lg_u32 s2, 11
	s_mov_b32 s3, -1
	s_cselect_b32 s0, -1, 0
.LBB15_1763:
	s_delay_alu instid0(SALU_CYCLE_1)
	s_and_b32 vcc_lo, exec_lo, s0
	s_cbranch_vccnz .LBB15_2172
; %bb.1764:
	s_and_not1_b32 vcc_lo, exec_lo, s3
	s_cbranch_vccnz .LBB15_1766
.LBB15_1765:
	v_cmp_neq_f32_e32 vcc_lo, 0, v10
	s_mov_b32 s7, -1
	s_wait_xcnt 0x0
	v_cndmask_b32_e64 v1, 0, 1, vcc_lo
	global_store_b8 v[6:7], v1, off
.LBB15_1766:
	s_mov_b32 s0, 0
	s_branch .LBB15_1813
.LBB15_1767:
	s_mov_b32 s0, 0
	s_mov_b32 s3, 0
                                        ; implicit-def: $vgpr2_vgpr3
                                        ; implicit-def: $sgpr6
                                        ; implicit-def: $vgpr8
.LBB15_1768:
	s_and_not1_b32 s2, s8, exec_lo
	s_and_b32 s1, s1, exec_lo
	s_and_b32 s0, s0, exec_lo
	;; [unrolled: 1-line block ×3, first 2 shown]
	s_or_b32 s8, s2, s1
.LBB15_1769:
	s_wait_xcnt 0x0
	s_or_b32 exec_lo, exec_lo, s9
	s_and_saveexec_b32 s1, s8
	s_cbranch_execz .LBB15_1772
; %bb.1770:
	; divergent unreachable
	s_or_b32 exec_lo, exec_lo, s1
	s_and_saveexec_b32 s1, s33
	s_delay_alu instid0(SALU_CYCLE_1)
	s_xor_b32 s1, exec_lo, s1
	s_cbranch_execnz .LBB15_1773
.LBB15_1771:
	s_or_b32 exec_lo, exec_lo, s1
	s_and_saveexec_b32 s1, s0
	s_cbranch_execnz .LBB15_1774
	s_branch .LBB15_1811
.LBB15_1772:
	s_or_b32 exec_lo, exec_lo, s1
	s_and_saveexec_b32 s1, s33
	s_delay_alu instid0(SALU_CYCLE_1)
	s_xor_b32 s1, exec_lo, s1
	s_cbranch_execz .LBB15_1771
.LBB15_1773:
	v_cmp_neq_f32_e32 vcc_lo, 0, v8
	v_cndmask_b32_e64 v0, 0, 1, vcc_lo
	global_store_b8 v[2:3], v0, off
	s_wait_xcnt 0x0
	s_or_b32 exec_lo, exec_lo, s1
	s_and_saveexec_b32 s1, s0
	s_cbranch_execz .LBB15_1811
.LBB15_1774:
	s_sext_i32_i16 s1, s6
	s_mov_b32 s0, -1
	s_cmp_lt_i32 s1, 5
	s_cbranch_scc1 .LBB15_1795
; %bb.1775:
	s_cmp_lt_i32 s1, 8
	s_cbranch_scc1 .LBB15_1785
; %bb.1776:
	;; [unrolled: 3-line block ×3, first 2 shown]
	s_cmp_gt_i32 s1, 9
	s_cbranch_scc0 .LBB15_1779
; %bb.1778:
	v_cvt_f64_f32_e32 v[4:5], v8
	v_mov_b32_e32 v6, 0
	s_mov_b32 s0, 0
	s_delay_alu instid0(VALU_DEP_1)
	v_mov_b32_e32 v7, v6
	global_store_b128 v[2:3], v[4:7], off
.LBB15_1779:
	s_and_not1_b32 vcc_lo, exec_lo, s0
	s_cbranch_vccnz .LBB15_1781
; %bb.1780:
	v_mov_b32_e32 v9, 0
	global_store_b64 v[2:3], v[8:9], off
.LBB15_1781:
	s_mov_b32 s0, 0
.LBB15_1782:
	s_delay_alu instid0(SALU_CYCLE_1)
	s_and_not1_b32 vcc_lo, exec_lo, s0
	s_cbranch_vccnz .LBB15_1784
; %bb.1783:
	v_cvt_f16_f32_e32 v0, v8
	s_delay_alu instid0(VALU_DEP_1)
	v_and_b32_e32 v0, 0xffff, v0
	global_store_b32 v[2:3], v0, off
.LBB15_1784:
	s_mov_b32 s0, 0
.LBB15_1785:
	s_delay_alu instid0(SALU_CYCLE_1)
	s_and_not1_b32 vcc_lo, exec_lo, s0
	s_cbranch_vccnz .LBB15_1794
; %bb.1786:
	s_sext_i32_i16 s1, s6
	s_mov_b32 s0, -1
	s_cmp_lt_i32 s1, 6
	s_cbranch_scc1 .LBB15_1792
; %bb.1787:
	s_cmp_gt_i32 s1, 6
	s_cbranch_scc0 .LBB15_1789
; %bb.1788:
	s_wait_loadcnt 0x0
	v_cvt_f64_f32_e32 v[0:1], v8
	s_mov_b32 s0, 0
	global_store_b64 v[2:3], v[0:1], off
.LBB15_1789:
	s_and_not1_b32 vcc_lo, exec_lo, s0
	s_cbranch_vccnz .LBB15_1791
; %bb.1790:
	global_store_b32 v[2:3], v8, off
.LBB15_1791:
	s_mov_b32 s0, 0
.LBB15_1792:
	s_delay_alu instid0(SALU_CYCLE_1)
	s_and_not1_b32 vcc_lo, exec_lo, s0
	s_cbranch_vccnz .LBB15_1794
; %bb.1793:
	s_wait_xcnt 0x0
	v_cvt_f16_f32_e32 v0, v8
	global_store_b16 v[2:3], v0, off
.LBB15_1794:
	s_mov_b32 s0, 0
.LBB15_1795:
	s_delay_alu instid0(SALU_CYCLE_1)
	s_and_not1_b32 vcc_lo, exec_lo, s0
	s_cbranch_vccnz .LBB15_1811
; %bb.1796:
	s_sext_i32_i16 s1, s6
	s_mov_b32 s0, -1
	s_cmp_lt_i32 s1, 2
	s_cbranch_scc1 .LBB15_1806
; %bb.1797:
	s_cmp_lt_i32 s1, 3
	s_cbranch_scc1 .LBB15_1803
; %bb.1798:
	s_cmp_gt_i32 s1, 3
	s_cbranch_scc0 .LBB15_1800
; %bb.1799:
	s_wait_xcnt 0x0
	v_trunc_f32_e32 v0, v8
	s_mov_b32 s0, 0
	s_wait_loadcnt 0x0
	s_delay_alu instid0(VALU_DEP_1) | instskip(NEXT) | instid1(VALU_DEP_1)
	v_mul_f32_e64 v1, 0x2f800000, |v0|
	v_floor_f32_e32 v1, v1
	s_delay_alu instid0(VALU_DEP_1) | instskip(SKIP_2) | instid1(VALU_DEP_3)
	v_fma_f32 v4, 0xcf800000, v1, |v0|
	v_ashrrev_i32_e32 v0, 31, v0
	v_cvt_u32_f32_e32 v5, v1
	v_cvt_u32_f32_e32 v4, v4
	s_delay_alu instid0(VALU_DEP_2) | instskip(NEXT) | instid1(VALU_DEP_2)
	v_dual_mov_b32 v1, v0 :: v_dual_bitop2_b32 v5, v5, v0 bitop3:0x14
	v_xor_b32_e32 v4, v4, v0
	s_delay_alu instid0(VALU_DEP_1)
	v_sub_nc_u64_e32 v[0:1], v[4:5], v[0:1]
	global_store_b64 v[2:3], v[0:1], off
.LBB15_1800:
	s_and_not1_b32 vcc_lo, exec_lo, s0
	s_cbranch_vccnz .LBB15_1802
; %bb.1801:
	s_wait_xcnt 0x0
	v_cvt_i32_f32_e32 v0, v8
	global_store_b32 v[2:3], v0, off
.LBB15_1802:
	s_mov_b32 s0, 0
.LBB15_1803:
	s_delay_alu instid0(SALU_CYCLE_1)
	s_and_not1_b32 vcc_lo, exec_lo, s0
	s_cbranch_vccnz .LBB15_1805
; %bb.1804:
	s_wait_xcnt 0x0
	v_cvt_i32_f32_e32 v0, v8
	global_store_b16 v[2:3], v0, off
.LBB15_1805:
	s_mov_b32 s0, 0
.LBB15_1806:
	s_delay_alu instid0(SALU_CYCLE_1)
	s_and_not1_b32 vcc_lo, exec_lo, s0
	s_cbranch_vccnz .LBB15_1811
; %bb.1807:
	s_sext_i32_i16 s0, s6
	s_delay_alu instid0(SALU_CYCLE_1)
	s_cmp_gt_i32 s0, 0
	s_mov_b32 s0, -1
	s_cbranch_scc0 .LBB15_1809
; %bb.1808:
	s_wait_xcnt 0x0
	v_cvt_i32_f32_e32 v0, v8
	s_mov_b32 s0, 0
	global_store_b8 v[2:3], v0, off
.LBB15_1809:
	s_and_not1_b32 vcc_lo, exec_lo, s0
	s_cbranch_vccnz .LBB15_1811
; %bb.1810:
	s_wait_xcnt 0x0
	v_trunc_f32_e32 v0, v8
	s_wait_loadcnt 0x0
	s_delay_alu instid0(VALU_DEP_1) | instskip(NEXT) | instid1(VALU_DEP_1)
	v_mul_f32_e64 v1, 0x2f800000, |v0|
	v_floor_f32_e32 v1, v1
	s_delay_alu instid0(VALU_DEP_1) | instskip(SKIP_1) | instid1(VALU_DEP_2)
	v_fma_f32 v1, 0xcf800000, v1, |v0|
	v_ashrrev_i32_e32 v0, 31, v0
	v_cvt_u32_f32_e32 v1, v1
	s_delay_alu instid0(VALU_DEP_1) | instskip(NEXT) | instid1(VALU_DEP_1)
	v_xor_b32_e32 v1, v1, v0
	v_sub_nc_u32_e32 v0, v1, v0
	global_store_b8 v[2:3], v0, off
	s_endpgm
.LBB15_1811:
	s_endpgm
.LBB15_1812:
	s_mov_b32 s0, -1
	s_mov_b32 s7, 0
.LBB15_1813:
	s_and_b32 vcc_lo, exec_lo, s0
	s_cbranch_vccz .LBB15_1852
; %bb.1814:
	s_and_b32 s0, 0xffff, s6
	s_mov_b32 s2, -1
	s_cmp_lt_i32 s0, 5
	s_cbranch_scc1 .LBB15_1835
; %bb.1815:
	s_cmp_lt_i32 s0, 8
	s_cbranch_scc1 .LBB15_1825
; %bb.1816:
	;; [unrolled: 3-line block ×3, first 2 shown]
	s_cmp_gt_i32 s0, 9
	s_cbranch_scc0 .LBB15_1819
; %bb.1818:
	s_wait_xcnt 0x0
	v_cvt_f64_f32_e32 v[16:17], v10
	v_mov_b32_e32 v18, 0
	s_mov_b32 s2, 0
	s_delay_alu instid0(VALU_DEP_1)
	v_mov_b32_e32 v19, v18
	global_store_b128 v[6:7], v[16:19], off
.LBB15_1819:
	s_and_not1_b32 vcc_lo, exec_lo, s2
	s_cbranch_vccnz .LBB15_1821
; %bb.1820:
	v_mov_b32_e32 v11, 0
	global_store_b64 v[6:7], v[10:11], off
.LBB15_1821:
	s_mov_b32 s2, 0
.LBB15_1822:
	s_delay_alu instid0(SALU_CYCLE_1)
	s_and_not1_b32 vcc_lo, exec_lo, s2
	s_cbranch_vccnz .LBB15_1824
; %bb.1823:
	s_wait_xcnt 0x0
	v_cvt_f16_f32_e32 v1, v10
	s_delay_alu instid0(VALU_DEP_1)
	v_and_b32_e32 v1, 0xffff, v1
	global_store_b32 v[6:7], v1, off
.LBB15_1824:
	s_mov_b32 s2, 0
.LBB15_1825:
	s_delay_alu instid0(SALU_CYCLE_1)
	s_and_not1_b32 vcc_lo, exec_lo, s2
	s_cbranch_vccnz .LBB15_1834
; %bb.1826:
	s_cmp_lt_i32 s0, 6
	s_mov_b32 s2, -1
	s_cbranch_scc1 .LBB15_1832
; %bb.1827:
	s_cmp_gt_i32 s0, 6
	s_cbranch_scc0 .LBB15_1829
; %bb.1828:
	s_wait_xcnt 0x0
	v_cvt_f64_f32_e32 v[16:17], v10
	s_mov_b32 s2, 0
	global_store_b64 v[6:7], v[16:17], off
.LBB15_1829:
	s_and_not1_b32 vcc_lo, exec_lo, s2
	s_cbranch_vccnz .LBB15_1831
; %bb.1830:
	global_store_b32 v[6:7], v10, off
.LBB15_1831:
	s_mov_b32 s2, 0
.LBB15_1832:
	s_delay_alu instid0(SALU_CYCLE_1)
	s_and_not1_b32 vcc_lo, exec_lo, s2
	s_cbranch_vccnz .LBB15_1834
; %bb.1833:
	s_wait_xcnt 0x0
	v_cvt_f16_f32_e32 v1, v10
	global_store_b16 v[6:7], v1, off
.LBB15_1834:
	s_mov_b32 s2, 0
.LBB15_1835:
	s_delay_alu instid0(SALU_CYCLE_1)
	s_and_not1_b32 vcc_lo, exec_lo, s2
	s_cbranch_vccnz .LBB15_1851
; %bb.1836:
	s_cmp_lt_i32 s0, 2
	s_mov_b32 s2, -1
	s_cbranch_scc1 .LBB15_1846
; %bb.1837:
	s_cmp_lt_i32 s0, 3
	s_cbranch_scc1 .LBB15_1843
; %bb.1838:
	s_cmp_gt_i32 s0, 3
	s_cbranch_scc0 .LBB15_1840
; %bb.1839:
	s_wait_xcnt 0x0
	v_trunc_f32_e32 v1, v10
	s_mov_b32 s2, 0
	s_delay_alu instid0(VALU_DEP_1) | instskip(SKIP_1) | instid1(VALU_DEP_2)
	v_mul_f32_e64 v3, 0x2f800000, |v1|
	v_ashrrev_i32_e32 v16, 31, v1
	v_floor_f32_e32 v3, v3
	s_delay_alu instid0(VALU_DEP_1) | instskip(SKIP_1) | instid1(VALU_DEP_4)
	v_fma_f32 v5, 0xcf800000, v3, |v1|
	v_cvt_u32_f32_e32 v1, v3
	v_mov_b32_e32 v17, v16
	s_delay_alu instid0(VALU_DEP_3) | instskip(NEXT) | instid1(VALU_DEP_3)
	v_cvt_u32_f32_e32 v3, v5
	v_xor_b32_e32 v19, v1, v16
	s_delay_alu instid0(VALU_DEP_2) | instskip(NEXT) | instid1(VALU_DEP_1)
	v_xor_b32_e32 v18, v3, v16
	v_sub_nc_u64_e32 v[16:17], v[18:19], v[16:17]
	global_store_b64 v[6:7], v[16:17], off
.LBB15_1840:
	s_and_not1_b32 vcc_lo, exec_lo, s2
	s_cbranch_vccnz .LBB15_1842
; %bb.1841:
	s_wait_xcnt 0x0
	v_cvt_i32_f32_e32 v1, v10
	global_store_b32 v[6:7], v1, off
.LBB15_1842:
	s_mov_b32 s2, 0
.LBB15_1843:
	s_delay_alu instid0(SALU_CYCLE_1)
	s_and_not1_b32 vcc_lo, exec_lo, s2
	s_cbranch_vccnz .LBB15_1845
; %bb.1844:
	s_wait_xcnt 0x0
	v_cvt_i32_f32_e32 v1, v10
	global_store_b16 v[6:7], v1, off
.LBB15_1845:
	s_mov_b32 s2, 0
.LBB15_1846:
	s_delay_alu instid0(SALU_CYCLE_1)
	s_and_not1_b32 vcc_lo, exec_lo, s2
	s_cbranch_vccnz .LBB15_1851
; %bb.1847:
	s_cmp_gt_i32 s0, 0
	s_mov_b32 s0, -1
	s_cbranch_scc0 .LBB15_1849
; %bb.1848:
	s_wait_xcnt 0x0
	v_cvt_i32_f32_e32 v1, v10
	s_mov_b32 s0, 0
	global_store_b8 v[6:7], v1, off
.LBB15_1849:
	s_and_not1_b32 vcc_lo, exec_lo, s0
	s_cbranch_vccnz .LBB15_1851
; %bb.1850:
	s_wait_xcnt 0x0
	v_trunc_f32_e32 v1, v10
	s_delay_alu instid0(VALU_DEP_1) | instskip(NEXT) | instid1(VALU_DEP_1)
	v_mul_f32_e64 v3, 0x2f800000, |v1|
	v_floor_f32_e32 v3, v3
	s_delay_alu instid0(VALU_DEP_1) | instskip(SKIP_1) | instid1(VALU_DEP_2)
	v_fma_f32 v3, 0xcf800000, v3, |v1|
	v_ashrrev_i32_e32 v1, 31, v1
	v_cvt_u32_f32_e32 v3, v3
	s_delay_alu instid0(VALU_DEP_1) | instskip(NEXT) | instid1(VALU_DEP_1)
	v_xor_b32_e32 v3, v3, v1
	v_sub_nc_u32_e32 v1, v3, v1
	global_store_b8 v[6:7], v1, off
.LBB15_1851:
	s_mov_b32 s7, -1
.LBB15_1852:
	s_delay_alu instid0(SALU_CYCLE_1)
	s_and_not1_b32 vcc_lo, exec_lo, s7
	s_cbranch_vccnz .LBB15_2167
; %bb.1853:
	v_mov_b32_e32 v5, 0
	s_and_b32 s2, 0xffff, s6
	s_delay_alu instid0(SALU_CYCLE_1) | instskip(NEXT) | instid1(VALU_DEP_1)
	s_cmp_lt_i32 s2, 11
	v_add_nc_u64_e32 v[4:5], s[4:5], v[4:5]
	s_cbranch_scc1 .LBB15_1931
; %bb.1854:
	s_mov_b32 s10, -1
	s_mov_b32 s3, 0
	s_cmp_gt_i32 s2, 25
	s_mov_b32 s7, 0
	s_mov_b32 s0, 0
	s_cbranch_scc0 .LBB15_1887
; %bb.1855:
	s_cmp_gt_i32 s2, 28
	s_cbranch_scc0 .LBB15_1870
; %bb.1856:
	s_cmp_gt_i32 s2, 43
	;; [unrolled: 3-line block ×3, first 2 shown]
	s_cbranch_scc0 .LBB15_1860
; %bb.1858:
	s_mov_b32 s0, -1
	s_mov_b32 s10, 0
	s_cmp_eq_u32 s2, 46
	s_cbranch_scc0 .LBB15_1860
; %bb.1859:
	s_wait_xcnt 0x0
	v_bfe_u32 v1, v12, 16, 1
	v_cmp_o_f32_e32 vcc_lo, v12, v12
	s_mov_b32 s0, 0
	s_mov_b32 s7, -1
	s_delay_alu instid0(VALU_DEP_2) | instskip(NEXT) | instid1(VALU_DEP_1)
	v_add3_u32 v1, v12, v1, 0x7fff
	v_lshrrev_b32_e32 v1, 16, v1
	s_delay_alu instid0(VALU_DEP_1)
	v_cndmask_b32_e32 v1, 0x7fc0, v1, vcc_lo
	global_store_b32 v[4:5], v1, off
.LBB15_1860:
	s_and_b32 vcc_lo, exec_lo, s10
	s_cbranch_vccz .LBB15_1865
; %bb.1861:
	s_cmp_eq_u32 s2, 44
	s_mov_b32 s0, -1
	s_cbranch_scc0 .LBB15_1865
; %bb.1862:
	s_wait_xcnt 0x0
	v_bfe_u32 v3, v12, 23, 8
	v_mov_b32_e32 v1, 0xff
	s_mov_b32 s7, exec_lo
	s_delay_alu instid0(VALU_DEP_2)
	v_cmpx_ne_u32_e32 0xff, v3
	s_cbranch_execz .LBB15_1864
; %bb.1863:
	v_and_b32_e32 v1, 0x400000, v12
	v_and_or_b32 v3, 0x3fffff, v12, v3
	s_delay_alu instid0(VALU_DEP_2) | instskip(NEXT) | instid1(VALU_DEP_2)
	v_cmp_ne_u32_e32 vcc_lo, 0, v1
	v_cmp_ne_u32_e64 s0, 0, v3
	v_lshrrev_b32_e32 v1, 23, v12
	s_and_b32 s0, vcc_lo, s0
	s_delay_alu instid0(SALU_CYCLE_1) | instskip(NEXT) | instid1(VALU_DEP_1)
	v_cndmask_b32_e64 v3, 0, 1, s0
	v_add_nc_u32_e32 v1, v1, v3
.LBB15_1864:
	s_or_b32 exec_lo, exec_lo, s7
	s_mov_b32 s0, 0
	s_mov_b32 s7, -1
	global_store_b8 v[4:5], v1, off
.LBB15_1865:
	s_mov_b32 s10, 0
.LBB15_1866:
	s_delay_alu instid0(SALU_CYCLE_1)
	s_and_b32 vcc_lo, exec_lo, s10
	s_cbranch_vccz .LBB15_1869
; %bb.1867:
	s_cmp_eq_u32 s2, 29
	s_mov_b32 s0, -1
	s_cbranch_scc0 .LBB15_1869
; %bb.1868:
	s_wait_xcnt 0x0
	v_trunc_f32_e32 v1, v12
	s_mov_b32 s0, 0
	s_mov_b32 s7, -1
	s_delay_alu instid0(VALU_DEP_1) | instskip(NEXT) | instid1(VALU_DEP_1)
	v_mul_f32_e32 v3, 0x2f800000, v1
	v_floor_f32_e32 v3, v3
	s_delay_alu instid0(VALU_DEP_1) | instskip(SKIP_1) | instid1(VALU_DEP_2)
	v_fmamk_f32 v1, v3, 0xcf800000, v1
	v_cvt_u32_f32_e32 v7, v3
	v_cvt_u32_f32_e32 v6, v1
	global_store_b64 v[4:5], v[6:7], off
.LBB15_1869:
	s_mov_b32 s10, 0
.LBB15_1870:
	s_delay_alu instid0(SALU_CYCLE_1)
	s_and_b32 vcc_lo, exec_lo, s10
	s_cbranch_vccz .LBB15_1886
; %bb.1871:
	s_cmp_lt_i32 s2, 27
	s_mov_b32 s7, -1
	s_cbranch_scc1 .LBB15_1877
; %bb.1872:
	s_cmp_gt_i32 s2, 27
	s_cbranch_scc0 .LBB15_1874
; %bb.1873:
	s_wait_xcnt 0x0
	v_cvt_u32_f32_e32 v1, v12
	s_mov_b32 s7, 0
	global_store_b32 v[4:5], v1, off
.LBB15_1874:
	s_and_not1_b32 vcc_lo, exec_lo, s7
	s_cbranch_vccnz .LBB15_1876
; %bb.1875:
	s_wait_xcnt 0x0
	v_cvt_u32_f32_e32 v1, v12
	global_store_b16 v[4:5], v1, off
.LBB15_1876:
	s_mov_b32 s7, 0
.LBB15_1877:
	s_delay_alu instid0(SALU_CYCLE_1)
	s_and_not1_b32 vcc_lo, exec_lo, s7
	s_cbranch_vccnz .LBB15_1885
; %bb.1878:
	s_wait_xcnt 0x0
	v_and_b32_e32 v1, 0x7fffffff, v12
	v_mov_b32_e32 v3, 0x80
	s_mov_b32 s7, exec_lo
	s_delay_alu instid0(VALU_DEP_2)
	v_cmpx_gt_u32_e32 0x43800000, v1
	s_cbranch_execz .LBB15_1884
; %bb.1879:
	v_cmp_lt_u32_e32 vcc_lo, 0x3bffffff, v1
	s_mov_b32 s10, 0
                                        ; implicit-def: $vgpr1
	s_and_saveexec_b32 s11, vcc_lo
	s_delay_alu instid0(SALU_CYCLE_1)
	s_xor_b32 s11, exec_lo, s11
	s_cbranch_execz .LBB15_2175
; %bb.1880:
	v_bfe_u32 v1, v12, 20, 1
	s_mov_b32 s10, exec_lo
	s_delay_alu instid0(VALU_DEP_1) | instskip(NEXT) | instid1(VALU_DEP_1)
	v_add3_u32 v1, v12, v1, 0x487ffff
	v_lshrrev_b32_e32 v1, 20, v1
	s_and_not1_saveexec_b32 s11, s11
	s_cbranch_execnz .LBB15_2176
.LBB15_1881:
	s_or_b32 exec_lo, exec_lo, s11
	v_mov_b32_e32 v3, 0
	s_and_saveexec_b32 s11, s10
.LBB15_1882:
	v_lshrrev_b32_e32 v3, 24, v12
	s_delay_alu instid0(VALU_DEP_1)
	v_and_or_b32 v3, 0x80, v3, v1
.LBB15_1883:
	s_or_b32 exec_lo, exec_lo, s11
.LBB15_1884:
	s_delay_alu instid0(SALU_CYCLE_1)
	s_or_b32 exec_lo, exec_lo, s7
	global_store_b8 v[4:5], v3, off
.LBB15_1885:
	s_mov_b32 s7, -1
.LBB15_1886:
	s_mov_b32 s10, 0
.LBB15_1887:
	s_delay_alu instid0(SALU_CYCLE_1)
	s_and_b32 vcc_lo, exec_lo, s10
	s_cbranch_vccz .LBB15_1927
; %bb.1888:
	s_cmp_gt_i32 s2, 22
	s_mov_b32 s3, -1
	s_cbranch_scc0 .LBB15_1920
; %bb.1889:
	s_cmp_lt_i32 s2, 24
	s_cbranch_scc1 .LBB15_1909
; %bb.1890:
	s_cmp_gt_i32 s2, 24
	s_cbranch_scc0 .LBB15_1898
; %bb.1891:
	s_wait_xcnt 0x0
	v_and_b32_e32 v1, 0x7fffffff, v12
	v_mov_b32_e32 v3, 0x80
	s_mov_b32 s3, exec_lo
	s_delay_alu instid0(VALU_DEP_2)
	v_cmpx_gt_u32_e32 0x47800000, v1
	s_cbranch_execz .LBB15_1897
; %bb.1892:
	v_cmp_lt_u32_e32 vcc_lo, 0x37ffffff, v1
	s_mov_b32 s7, 0
                                        ; implicit-def: $vgpr1
	s_and_saveexec_b32 s10, vcc_lo
	s_delay_alu instid0(SALU_CYCLE_1)
	s_xor_b32 s10, exec_lo, s10
	s_cbranch_execz .LBB15_2178
; %bb.1893:
	v_bfe_u32 v1, v12, 21, 1
	s_mov_b32 s7, exec_lo
	s_delay_alu instid0(VALU_DEP_1) | instskip(NEXT) | instid1(VALU_DEP_1)
	v_add3_u32 v1, v12, v1, 0x88fffff
	v_lshrrev_b32_e32 v1, 21, v1
	s_and_not1_saveexec_b32 s10, s10
	s_cbranch_execnz .LBB15_2179
.LBB15_1894:
	s_or_b32 exec_lo, exec_lo, s10
	v_mov_b32_e32 v3, 0
	s_and_saveexec_b32 s10, s7
.LBB15_1895:
	v_lshrrev_b32_e32 v3, 24, v12
	s_delay_alu instid0(VALU_DEP_1)
	v_and_or_b32 v3, 0x80, v3, v1
.LBB15_1896:
	s_or_b32 exec_lo, exec_lo, s10
.LBB15_1897:
	s_delay_alu instid0(SALU_CYCLE_1)
	s_or_b32 exec_lo, exec_lo, s3
	s_mov_b32 s3, 0
	global_store_b8 v[4:5], v3, off
.LBB15_1898:
	s_and_b32 vcc_lo, exec_lo, s3
	s_cbranch_vccz .LBB15_1908
; %bb.1899:
	s_wait_xcnt 0x0
	v_and_b32_e32 v3, 0x7fffffff, v12
	s_mov_b32 s3, exec_lo
                                        ; implicit-def: $vgpr1
	s_delay_alu instid0(VALU_DEP_1)
	v_cmpx_gt_u32_e32 0x43f00000, v3
	s_xor_b32 s3, exec_lo, s3
	s_cbranch_execz .LBB15_1905
; %bb.1900:
	s_mov_b32 s7, exec_lo
                                        ; implicit-def: $vgpr1
	v_cmpx_lt_u32_e32 0x3c7fffff, v3
	s_xor_b32 s7, exec_lo, s7
; %bb.1901:
	v_bfe_u32 v1, v12, 20, 1
	s_delay_alu instid0(VALU_DEP_1) | instskip(NEXT) | instid1(VALU_DEP_1)
	v_add3_u32 v1, v12, v1, 0x407ffff
	v_and_b32_e32 v3, 0xff00000, v1
	v_lshrrev_b32_e32 v1, 20, v1
	s_delay_alu instid0(VALU_DEP_2) | instskip(NEXT) | instid1(VALU_DEP_2)
	v_cmp_ne_u32_e32 vcc_lo, 0x7f00000, v3
	v_cndmask_b32_e32 v1, 0x7e, v1, vcc_lo
; %bb.1902:
	s_and_not1_saveexec_b32 s7, s7
; %bb.1903:
	v_add_f32_e64 v1, 0x46800000, |v12|
; %bb.1904:
	s_or_b32 exec_lo, exec_lo, s7
                                        ; implicit-def: $vgpr3
.LBB15_1905:
	s_and_not1_saveexec_b32 s3, s3
; %bb.1906:
	v_mov_b32_e32 v1, 0x7f
	v_cmp_lt_u32_e32 vcc_lo, 0x7f800000, v3
	s_delay_alu instid0(VALU_DEP_2)
	v_cndmask_b32_e32 v1, 0x7e, v1, vcc_lo
; %bb.1907:
	s_or_b32 exec_lo, exec_lo, s3
	v_lshrrev_b32_e32 v3, 24, v12
	s_delay_alu instid0(VALU_DEP_1)
	v_and_or_b32 v1, 0x80, v3, v1
	global_store_b8 v[4:5], v1, off
.LBB15_1908:
	s_mov_b32 s3, 0
.LBB15_1909:
	s_delay_alu instid0(SALU_CYCLE_1)
	s_and_not1_b32 vcc_lo, exec_lo, s3
	s_cbranch_vccnz .LBB15_1919
; %bb.1910:
	s_wait_xcnt 0x0
	v_and_b32_e32 v3, 0x7fffffff, v12
	s_mov_b32 s3, exec_lo
                                        ; implicit-def: $vgpr1
	s_delay_alu instid0(VALU_DEP_1)
	v_cmpx_gt_u32_e32 0x47800000, v3
	s_xor_b32 s3, exec_lo, s3
	s_cbranch_execz .LBB15_1916
; %bb.1911:
	s_mov_b32 s7, exec_lo
                                        ; implicit-def: $vgpr1
	v_cmpx_lt_u32_e32 0x387fffff, v3
	s_xor_b32 s7, exec_lo, s7
; %bb.1912:
	v_bfe_u32 v1, v12, 21, 1
	s_delay_alu instid0(VALU_DEP_1) | instskip(NEXT) | instid1(VALU_DEP_1)
	v_add3_u32 v1, v12, v1, 0x80fffff
	v_lshrrev_b32_e32 v1, 21, v1
; %bb.1913:
	s_and_not1_saveexec_b32 s7, s7
; %bb.1914:
	v_add_f32_e64 v1, 0x43000000, |v12|
; %bb.1915:
	s_or_b32 exec_lo, exec_lo, s7
                                        ; implicit-def: $vgpr3
.LBB15_1916:
	s_and_not1_saveexec_b32 s3, s3
; %bb.1917:
	v_mov_b32_e32 v1, 0x7f
	v_cmp_lt_u32_e32 vcc_lo, 0x7f800000, v3
	s_delay_alu instid0(VALU_DEP_2)
	v_cndmask_b32_e32 v1, 0x7c, v1, vcc_lo
; %bb.1918:
	s_or_b32 exec_lo, exec_lo, s3
	v_lshrrev_b32_e32 v3, 24, v12
	s_delay_alu instid0(VALU_DEP_1)
	v_and_or_b32 v1, 0x80, v3, v1
	global_store_b8 v[4:5], v1, off
.LBB15_1919:
	s_mov_b32 s3, 0
	s_mov_b32 s7, -1
.LBB15_1920:
	s_and_not1_b32 vcc_lo, exec_lo, s3
	s_mov_b32 s3, 0
	s_cbranch_vccnz .LBB15_1927
; %bb.1921:
	s_cmp_gt_i32 s2, 14
	s_mov_b32 s3, -1
	s_cbranch_scc0 .LBB15_1925
; %bb.1922:
	s_cmp_eq_u32 s2, 15
	s_mov_b32 s0, -1
	s_cbranch_scc0 .LBB15_1924
; %bb.1923:
	s_wait_xcnt 0x0
	v_bfe_u32 v1, v12, 16, 1
	v_cmp_o_f32_e32 vcc_lo, v12, v12
	s_mov_b32 s0, 0
	s_mov_b32 s7, -1
	s_delay_alu instid0(VALU_DEP_2) | instskip(NEXT) | instid1(VALU_DEP_1)
	v_add3_u32 v1, v12, v1, 0x7fff
	v_lshrrev_b32_e32 v1, 16, v1
	s_delay_alu instid0(VALU_DEP_1)
	v_cndmask_b32_e32 v1, 0x7fc0, v1, vcc_lo
	global_store_b16 v[4:5], v1, off
.LBB15_1924:
	s_mov_b32 s3, 0
.LBB15_1925:
	s_delay_alu instid0(SALU_CYCLE_1)
	s_and_b32 vcc_lo, exec_lo, s3
	s_mov_b32 s3, 0
	s_cbranch_vccz .LBB15_1927
; %bb.1926:
	s_cmp_lg_u32 s2, 11
	s_mov_b32 s3, -1
	s_cselect_b32 s0, -1, 0
.LBB15_1927:
	s_delay_alu instid0(SALU_CYCLE_1)
	s_and_b32 vcc_lo, exec_lo, s0
	s_cbranch_vccnz .LBB15_2177
; %bb.1928:
	s_and_not1_b32 vcc_lo, exec_lo, s3
	s_cbranch_vccnz .LBB15_1930
.LBB15_1929:
	v_cmp_neq_f32_e32 vcc_lo, 0, v12
	s_mov_b32 s7, -1
	s_wait_xcnt 0x0
	v_cndmask_b32_e64 v1, 0, 1, vcc_lo
	global_store_b8 v[4:5], v1, off
.LBB15_1930:
	s_mov_b32 s0, 0
	s_branch .LBB15_1932
.LBB15_1931:
	s_mov_b32 s0, -1
	s_mov_b32 s7, 0
.LBB15_1932:
	s_and_b32 vcc_lo, exec_lo, s0
	s_cbranch_vccz .LBB15_1971
; %bb.1933:
	s_cmp_lt_i32 s2, 5
	s_mov_b32 s0, -1
	s_cbranch_scc1 .LBB15_1954
; %bb.1934:
	s_cmp_lt_i32 s2, 8
	s_cbranch_scc1 .LBB15_1944
; %bb.1935:
	s_cmp_lt_i32 s2, 9
	s_cbranch_scc1 .LBB15_1941
; %bb.1936:
	s_cmp_gt_i32 s2, 9
	s_cbranch_scc0 .LBB15_1938
; %bb.1937:
	s_wait_xcnt 0x0
	v_cvt_f64_f32_e32 v[16:17], v12
	v_mov_b32_e32 v18, 0
	s_mov_b32 s0, 0
	s_delay_alu instid0(VALU_DEP_1)
	v_mov_b32_e32 v19, v18
	global_store_b128 v[4:5], v[16:19], off
.LBB15_1938:
	s_and_not1_b32 vcc_lo, exec_lo, s0
	s_cbranch_vccnz .LBB15_1940
; %bb.1939:
	v_mov_b32_e32 v13, 0
	global_store_b64 v[4:5], v[12:13], off
.LBB15_1940:
	s_mov_b32 s0, 0
.LBB15_1941:
	s_delay_alu instid0(SALU_CYCLE_1)
	s_and_not1_b32 vcc_lo, exec_lo, s0
	s_cbranch_vccnz .LBB15_1943
; %bb.1942:
	s_wait_xcnt 0x0
	v_cvt_f16_f32_e32 v1, v12
	s_delay_alu instid0(VALU_DEP_1)
	v_and_b32_e32 v1, 0xffff, v1
	global_store_b32 v[4:5], v1, off
.LBB15_1943:
	s_mov_b32 s0, 0
.LBB15_1944:
	s_delay_alu instid0(SALU_CYCLE_1)
	s_and_not1_b32 vcc_lo, exec_lo, s0
	s_cbranch_vccnz .LBB15_1953
; %bb.1945:
	s_cmp_lt_i32 s2, 6
	s_mov_b32 s0, -1
	s_cbranch_scc1 .LBB15_1951
; %bb.1946:
	s_cmp_gt_i32 s2, 6
	s_cbranch_scc0 .LBB15_1948
; %bb.1947:
	s_wait_xcnt 0x0
	v_cvt_f64_f32_e32 v[6:7], v12
	s_mov_b32 s0, 0
	global_store_b64 v[4:5], v[6:7], off
.LBB15_1948:
	s_and_not1_b32 vcc_lo, exec_lo, s0
	s_cbranch_vccnz .LBB15_1950
; %bb.1949:
	global_store_b32 v[4:5], v12, off
.LBB15_1950:
	s_mov_b32 s0, 0
.LBB15_1951:
	s_delay_alu instid0(SALU_CYCLE_1)
	s_and_not1_b32 vcc_lo, exec_lo, s0
	s_cbranch_vccnz .LBB15_1953
; %bb.1952:
	s_wait_xcnt 0x0
	v_cvt_f16_f32_e32 v1, v12
	global_store_b16 v[4:5], v1, off
.LBB15_1953:
	s_mov_b32 s0, 0
.LBB15_1954:
	s_delay_alu instid0(SALU_CYCLE_1)
	s_and_not1_b32 vcc_lo, exec_lo, s0
	s_cbranch_vccnz .LBB15_1970
; %bb.1955:
	s_cmp_lt_i32 s2, 2
	s_mov_b32 s0, -1
	s_cbranch_scc1 .LBB15_1965
; %bb.1956:
	s_cmp_lt_i32 s2, 3
	s_cbranch_scc1 .LBB15_1962
; %bb.1957:
	s_cmp_gt_i32 s2, 3
	s_cbranch_scc0 .LBB15_1959
; %bb.1958:
	s_wait_xcnt 0x0
	v_trunc_f32_e32 v1, v12
	s_mov_b32 s0, 0
	s_delay_alu instid0(VALU_DEP_1) | instskip(SKIP_1) | instid1(VALU_DEP_2)
	v_mul_f32_e64 v3, 0x2f800000, |v1|
	v_ashrrev_i32_e32 v6, 31, v1
	v_floor_f32_e32 v3, v3
	s_delay_alu instid0(VALU_DEP_1) | instskip(SKIP_1) | instid1(VALU_DEP_2)
	v_fma_f32 v7, 0xcf800000, v3, |v1|
	v_cvt_u32_f32_e32 v1, v3
	v_cvt_u32_f32_e32 v3, v7
	s_delay_alu instid0(VALU_DEP_2) | instskip(NEXT) | instid1(VALU_DEP_2)
	v_dual_mov_b32 v7, v6 :: v_dual_bitop2_b32 v11, v1, v6 bitop3:0x14
	v_xor_b32_e32 v10, v3, v6
	s_delay_alu instid0(VALU_DEP_1)
	v_sub_nc_u64_e32 v[6:7], v[10:11], v[6:7]
	global_store_b64 v[4:5], v[6:7], off
.LBB15_1959:
	s_and_not1_b32 vcc_lo, exec_lo, s0
	s_cbranch_vccnz .LBB15_1961
; %bb.1960:
	s_wait_xcnt 0x0
	v_cvt_i32_f32_e32 v1, v12
	global_store_b32 v[4:5], v1, off
.LBB15_1961:
	s_mov_b32 s0, 0
.LBB15_1962:
	s_delay_alu instid0(SALU_CYCLE_1)
	s_and_not1_b32 vcc_lo, exec_lo, s0
	s_cbranch_vccnz .LBB15_1964
; %bb.1963:
	s_wait_xcnt 0x0
	v_cvt_i32_f32_e32 v1, v12
	global_store_b16 v[4:5], v1, off
.LBB15_1964:
	s_mov_b32 s0, 0
.LBB15_1965:
	s_delay_alu instid0(SALU_CYCLE_1)
	s_and_not1_b32 vcc_lo, exec_lo, s0
	s_cbranch_vccnz .LBB15_1970
; %bb.1966:
	s_cmp_gt_i32 s2, 0
	s_mov_b32 s0, -1
	s_cbranch_scc0 .LBB15_1968
; %bb.1967:
	s_wait_xcnt 0x0
	v_cvt_i32_f32_e32 v1, v12
	s_mov_b32 s0, 0
	global_store_b8 v[4:5], v1, off
.LBB15_1968:
	s_and_not1_b32 vcc_lo, exec_lo, s0
	s_cbranch_vccnz .LBB15_1970
; %bb.1969:
	s_wait_xcnt 0x0
	v_trunc_f32_e32 v1, v12
	s_delay_alu instid0(VALU_DEP_1) | instskip(NEXT) | instid1(VALU_DEP_1)
	v_mul_f32_e64 v3, 0x2f800000, |v1|
	v_floor_f32_e32 v3, v3
	s_delay_alu instid0(VALU_DEP_1) | instskip(SKIP_1) | instid1(VALU_DEP_2)
	v_fma_f32 v3, 0xcf800000, v3, |v1|
	v_ashrrev_i32_e32 v1, 31, v1
	v_cvt_u32_f32_e32 v3, v3
	s_delay_alu instid0(VALU_DEP_1) | instskip(NEXT) | instid1(VALU_DEP_1)
	v_xor_b32_e32 v3, v3, v1
	v_sub_nc_u32_e32 v1, v3, v1
	global_store_b8 v[4:5], v1, off
.LBB15_1970:
	s_mov_b32 s7, -1
.LBB15_1971:
	s_delay_alu instid0(SALU_CYCLE_1)
	s_and_not1_b32 vcc_lo, exec_lo, s7
	s_cbranch_vccnz .LBB15_2167
; %bb.1972:
	s_wait_xcnt 0x0
	v_mov_b32_e32 v3, 0
	s_cmp_lt_i32 s2, 11
	s_delay_alu instid0(VALU_DEP_1)
	v_add_nc_u64_e32 v[2:3], s[4:5], v[2:3]
	s_cbranch_scc1 .LBB15_2050
; %bb.1973:
	s_mov_b32 s10, -1
	s_mov_b32 s3, 0
	s_cmp_gt_i32 s2, 25
	s_mov_b32 s7, 0
	s_mov_b32 s0, 0
	s_cbranch_scc0 .LBB15_2006
; %bb.1974:
	s_cmp_gt_i32 s2, 28
	s_cbranch_scc0 .LBB15_1989
; %bb.1975:
	s_cmp_gt_i32 s2, 43
	;; [unrolled: 3-line block ×3, first 2 shown]
	s_cbranch_scc0 .LBB15_1979
; %bb.1977:
	s_mov_b32 s0, -1
	s_mov_b32 s10, 0
	s_cmp_eq_u32 s2, 46
	s_cbranch_scc0 .LBB15_1979
; %bb.1978:
	v_bfe_u32 v1, v14, 16, 1
	v_cmp_o_f32_e32 vcc_lo, v14, v14
	s_mov_b32 s0, 0
	s_mov_b32 s7, -1
	s_delay_alu instid0(VALU_DEP_2) | instskip(NEXT) | instid1(VALU_DEP_1)
	v_add3_u32 v1, v14, v1, 0x7fff
	v_lshrrev_b32_e32 v1, 16, v1
	s_delay_alu instid0(VALU_DEP_1)
	v_cndmask_b32_e32 v1, 0x7fc0, v1, vcc_lo
	global_store_b32 v[2:3], v1, off
.LBB15_1979:
	s_and_b32 vcc_lo, exec_lo, s10
	s_cbranch_vccz .LBB15_1984
; %bb.1980:
	s_cmp_eq_u32 s2, 44
	s_mov_b32 s0, -1
	s_cbranch_scc0 .LBB15_1984
; %bb.1981:
	v_bfe_u32 v4, v14, 23, 8
	s_wait_xcnt 0x0
	v_mov_b32_e32 v1, 0xff
	s_mov_b32 s7, exec_lo
	s_delay_alu instid0(VALU_DEP_2)
	v_cmpx_ne_u32_e32 0xff, v4
	s_cbranch_execz .LBB15_1983
; %bb.1982:
	v_and_b32_e32 v1, 0x400000, v14
	v_and_or_b32 v4, 0x3fffff, v14, v4
	s_delay_alu instid0(VALU_DEP_2) | instskip(NEXT) | instid1(VALU_DEP_2)
	v_cmp_ne_u32_e32 vcc_lo, 0, v1
	v_cmp_ne_u32_e64 s0, 0, v4
	v_lshrrev_b32_e32 v1, 23, v14
	s_and_b32 s0, vcc_lo, s0
	s_delay_alu instid0(SALU_CYCLE_1) | instskip(NEXT) | instid1(VALU_DEP_1)
	v_cndmask_b32_e64 v4, 0, 1, s0
	v_add_nc_u32_e32 v1, v1, v4
.LBB15_1983:
	s_or_b32 exec_lo, exec_lo, s7
	s_mov_b32 s0, 0
	s_mov_b32 s7, -1
	global_store_b8 v[2:3], v1, off
.LBB15_1984:
	s_mov_b32 s10, 0
.LBB15_1985:
	s_delay_alu instid0(SALU_CYCLE_1)
	s_and_b32 vcc_lo, exec_lo, s10
	s_cbranch_vccz .LBB15_1988
; %bb.1986:
	s_cmp_eq_u32 s2, 29
	s_mov_b32 s0, -1
	s_cbranch_scc0 .LBB15_1988
; %bb.1987:
	s_wait_xcnt 0x0
	v_trunc_f32_e32 v1, v14
	s_mov_b32 s0, 0
	s_mov_b32 s7, -1
	s_delay_alu instid0(VALU_DEP_1) | instskip(NEXT) | instid1(VALU_DEP_1)
	v_mul_f32_e32 v4, 0x2f800000, v1
	v_floor_f32_e32 v4, v4
	s_delay_alu instid0(VALU_DEP_1) | instskip(SKIP_1) | instid1(VALU_DEP_2)
	v_fmamk_f32 v1, v4, 0xcf800000, v1
	v_cvt_u32_f32_e32 v5, v4
	v_cvt_u32_f32_e32 v4, v1
	global_store_b64 v[2:3], v[4:5], off
.LBB15_1988:
	s_mov_b32 s10, 0
.LBB15_1989:
	s_delay_alu instid0(SALU_CYCLE_1)
	s_and_b32 vcc_lo, exec_lo, s10
	s_cbranch_vccz .LBB15_2005
; %bb.1990:
	s_cmp_lt_i32 s2, 27
	s_mov_b32 s7, -1
	s_cbranch_scc1 .LBB15_1996
; %bb.1991:
	s_wait_xcnt 0x0
	v_cvt_u32_f32_e32 v1, v14
	s_cmp_gt_i32 s2, 27
	s_cbranch_scc0 .LBB15_1993
; %bb.1992:
	s_mov_b32 s7, 0
	global_store_b32 v[2:3], v1, off
.LBB15_1993:
	s_and_not1_b32 vcc_lo, exec_lo, s7
	s_cbranch_vccnz .LBB15_1995
; %bb.1994:
	global_store_b16 v[2:3], v1, off
.LBB15_1995:
	s_mov_b32 s7, 0
.LBB15_1996:
	s_delay_alu instid0(SALU_CYCLE_1)
	s_and_not1_b32 vcc_lo, exec_lo, s7
	s_cbranch_vccnz .LBB15_2004
; %bb.1997:
	s_wait_xcnt 0x0
	v_and_b32_e32 v1, 0x7fffffff, v14
	v_mov_b32_e32 v4, 0x80
	s_mov_b32 s7, exec_lo
	s_delay_alu instid0(VALU_DEP_2)
	v_cmpx_gt_u32_e32 0x43800000, v1
	s_cbranch_execz .LBB15_2003
; %bb.1998:
	v_cmp_lt_u32_e32 vcc_lo, 0x3bffffff, v1
	s_mov_b32 s10, 0
                                        ; implicit-def: $vgpr1
	s_and_saveexec_b32 s11, vcc_lo
	s_delay_alu instid0(SALU_CYCLE_1)
	s_xor_b32 s11, exec_lo, s11
	s_cbranch_execz .LBB15_2180
; %bb.1999:
	v_bfe_u32 v1, v14, 20, 1
	s_mov_b32 s10, exec_lo
	s_delay_alu instid0(VALU_DEP_1) | instskip(NEXT) | instid1(VALU_DEP_1)
	v_add3_u32 v1, v14, v1, 0x487ffff
	v_lshrrev_b32_e32 v1, 20, v1
	s_and_not1_saveexec_b32 s11, s11
	s_cbranch_execnz .LBB15_2181
.LBB15_2000:
	s_or_b32 exec_lo, exec_lo, s11
	v_mov_b32_e32 v4, 0
	s_and_saveexec_b32 s11, s10
.LBB15_2001:
	v_lshrrev_b32_e32 v4, 24, v14
	s_delay_alu instid0(VALU_DEP_1)
	v_and_or_b32 v4, 0x80, v4, v1
.LBB15_2002:
	s_or_b32 exec_lo, exec_lo, s11
.LBB15_2003:
	s_delay_alu instid0(SALU_CYCLE_1)
	s_or_b32 exec_lo, exec_lo, s7
	global_store_b8 v[2:3], v4, off
.LBB15_2004:
	s_mov_b32 s7, -1
.LBB15_2005:
	s_mov_b32 s10, 0
.LBB15_2006:
	s_delay_alu instid0(SALU_CYCLE_1)
	s_and_b32 vcc_lo, exec_lo, s10
	s_cbranch_vccz .LBB15_2046
; %bb.2007:
	s_cmp_gt_i32 s2, 22
	s_mov_b32 s3, -1
	s_cbranch_scc0 .LBB15_2039
; %bb.2008:
	s_cmp_lt_i32 s2, 24
	s_cbranch_scc1 .LBB15_2028
; %bb.2009:
	s_cmp_gt_i32 s2, 24
	s_cbranch_scc0 .LBB15_2017
; %bb.2010:
	s_wait_xcnt 0x0
	v_and_b32_e32 v1, 0x7fffffff, v14
	v_mov_b32_e32 v4, 0x80
	s_mov_b32 s3, exec_lo
	s_delay_alu instid0(VALU_DEP_2)
	v_cmpx_gt_u32_e32 0x47800000, v1
	s_cbranch_execz .LBB15_2016
; %bb.2011:
	v_cmp_lt_u32_e32 vcc_lo, 0x37ffffff, v1
	s_mov_b32 s7, 0
                                        ; implicit-def: $vgpr1
	s_and_saveexec_b32 s10, vcc_lo
	s_delay_alu instid0(SALU_CYCLE_1)
	s_xor_b32 s10, exec_lo, s10
	s_cbranch_execz .LBB15_2183
; %bb.2012:
	v_bfe_u32 v1, v14, 21, 1
	s_mov_b32 s7, exec_lo
	s_delay_alu instid0(VALU_DEP_1) | instskip(NEXT) | instid1(VALU_DEP_1)
	v_add3_u32 v1, v14, v1, 0x88fffff
	v_lshrrev_b32_e32 v1, 21, v1
	s_and_not1_saveexec_b32 s10, s10
	s_cbranch_execnz .LBB15_2184
.LBB15_2013:
	s_or_b32 exec_lo, exec_lo, s10
	v_mov_b32_e32 v4, 0
	s_and_saveexec_b32 s10, s7
.LBB15_2014:
	v_lshrrev_b32_e32 v4, 24, v14
	s_delay_alu instid0(VALU_DEP_1)
	v_and_or_b32 v4, 0x80, v4, v1
.LBB15_2015:
	s_or_b32 exec_lo, exec_lo, s10
.LBB15_2016:
	s_delay_alu instid0(SALU_CYCLE_1)
	s_or_b32 exec_lo, exec_lo, s3
	s_mov_b32 s3, 0
	global_store_b8 v[2:3], v4, off
.LBB15_2017:
	s_and_b32 vcc_lo, exec_lo, s3
	s_cbranch_vccz .LBB15_2027
; %bb.2018:
	s_wait_xcnt 0x0
	v_and_b32_e32 v4, 0x7fffffff, v14
	s_mov_b32 s3, exec_lo
                                        ; implicit-def: $vgpr1
	s_delay_alu instid0(VALU_DEP_1)
	v_cmpx_gt_u32_e32 0x43f00000, v4
	s_xor_b32 s3, exec_lo, s3
	s_cbranch_execz .LBB15_2024
; %bb.2019:
	s_mov_b32 s7, exec_lo
                                        ; implicit-def: $vgpr1
	v_cmpx_lt_u32_e32 0x3c7fffff, v4
	s_xor_b32 s7, exec_lo, s7
; %bb.2020:
	v_bfe_u32 v1, v14, 20, 1
	s_delay_alu instid0(VALU_DEP_1) | instskip(NEXT) | instid1(VALU_DEP_1)
	v_add3_u32 v1, v14, v1, 0x407ffff
	v_and_b32_e32 v4, 0xff00000, v1
	v_lshrrev_b32_e32 v1, 20, v1
	s_delay_alu instid0(VALU_DEP_2) | instskip(NEXT) | instid1(VALU_DEP_2)
	v_cmp_ne_u32_e32 vcc_lo, 0x7f00000, v4
	v_cndmask_b32_e32 v1, 0x7e, v1, vcc_lo
; %bb.2021:
	s_and_not1_saveexec_b32 s7, s7
; %bb.2022:
	v_add_f32_e64 v1, 0x46800000, |v14|
; %bb.2023:
	s_or_b32 exec_lo, exec_lo, s7
                                        ; implicit-def: $vgpr4
.LBB15_2024:
	s_and_not1_saveexec_b32 s3, s3
; %bb.2025:
	v_mov_b32_e32 v1, 0x7f
	v_cmp_lt_u32_e32 vcc_lo, 0x7f800000, v4
	s_delay_alu instid0(VALU_DEP_2)
	v_cndmask_b32_e32 v1, 0x7e, v1, vcc_lo
; %bb.2026:
	s_or_b32 exec_lo, exec_lo, s3
	v_lshrrev_b32_e32 v4, 24, v14
	s_delay_alu instid0(VALU_DEP_1)
	v_and_or_b32 v1, 0x80, v4, v1
	global_store_b8 v[2:3], v1, off
.LBB15_2027:
	s_mov_b32 s3, 0
.LBB15_2028:
	s_delay_alu instid0(SALU_CYCLE_1)
	s_and_not1_b32 vcc_lo, exec_lo, s3
	s_cbranch_vccnz .LBB15_2038
; %bb.2029:
	s_wait_xcnt 0x0
	v_and_b32_e32 v4, 0x7fffffff, v14
	s_mov_b32 s3, exec_lo
                                        ; implicit-def: $vgpr1
	s_delay_alu instid0(VALU_DEP_1)
	v_cmpx_gt_u32_e32 0x47800000, v4
	s_xor_b32 s3, exec_lo, s3
	s_cbranch_execz .LBB15_2035
; %bb.2030:
	s_mov_b32 s7, exec_lo
                                        ; implicit-def: $vgpr1
	v_cmpx_lt_u32_e32 0x387fffff, v4
	s_xor_b32 s7, exec_lo, s7
; %bb.2031:
	v_bfe_u32 v1, v14, 21, 1
	s_delay_alu instid0(VALU_DEP_1) | instskip(NEXT) | instid1(VALU_DEP_1)
	v_add3_u32 v1, v14, v1, 0x80fffff
	v_lshrrev_b32_e32 v1, 21, v1
; %bb.2032:
	s_and_not1_saveexec_b32 s7, s7
; %bb.2033:
	v_add_f32_e64 v1, 0x43000000, |v14|
; %bb.2034:
	s_or_b32 exec_lo, exec_lo, s7
                                        ; implicit-def: $vgpr4
.LBB15_2035:
	s_and_not1_saveexec_b32 s3, s3
; %bb.2036:
	v_mov_b32_e32 v1, 0x7f
	v_cmp_lt_u32_e32 vcc_lo, 0x7f800000, v4
	s_delay_alu instid0(VALU_DEP_2)
	v_cndmask_b32_e32 v1, 0x7c, v1, vcc_lo
; %bb.2037:
	s_or_b32 exec_lo, exec_lo, s3
	v_lshrrev_b32_e32 v4, 24, v14
	s_delay_alu instid0(VALU_DEP_1)
	v_and_or_b32 v1, 0x80, v4, v1
	global_store_b8 v[2:3], v1, off
.LBB15_2038:
	s_mov_b32 s3, 0
	s_mov_b32 s7, -1
.LBB15_2039:
	s_and_not1_b32 vcc_lo, exec_lo, s3
	s_mov_b32 s3, 0
	s_cbranch_vccnz .LBB15_2046
; %bb.2040:
	s_cmp_gt_i32 s2, 14
	s_mov_b32 s3, -1
	s_cbranch_scc0 .LBB15_2044
; %bb.2041:
	s_cmp_eq_u32 s2, 15
	s_mov_b32 s0, -1
	s_cbranch_scc0 .LBB15_2043
; %bb.2042:
	s_wait_xcnt 0x0
	v_bfe_u32 v1, v14, 16, 1
	v_cmp_o_f32_e32 vcc_lo, v14, v14
	s_mov_b32 s0, 0
	s_mov_b32 s7, -1
	s_delay_alu instid0(VALU_DEP_2) | instskip(NEXT) | instid1(VALU_DEP_1)
	v_add3_u32 v1, v14, v1, 0x7fff
	v_lshrrev_b32_e32 v1, 16, v1
	s_delay_alu instid0(VALU_DEP_1)
	v_cndmask_b32_e32 v1, 0x7fc0, v1, vcc_lo
	global_store_b16 v[2:3], v1, off
.LBB15_2043:
	s_mov_b32 s3, 0
.LBB15_2044:
	s_delay_alu instid0(SALU_CYCLE_1)
	s_and_b32 vcc_lo, exec_lo, s3
	s_mov_b32 s3, 0
	s_cbranch_vccz .LBB15_2046
; %bb.2045:
	s_cmp_lg_u32 s2, 11
	s_mov_b32 s3, -1
	s_cselect_b32 s0, -1, 0
.LBB15_2046:
	s_delay_alu instid0(SALU_CYCLE_1)
	s_and_b32 vcc_lo, exec_lo, s0
	s_cbranch_vccnz .LBB15_2182
; %bb.2047:
	s_and_not1_b32 vcc_lo, exec_lo, s3
	s_cbranch_vccnz .LBB15_2049
.LBB15_2048:
	v_cmp_neq_f32_e32 vcc_lo, 0, v14
	s_mov_b32 s7, -1
	s_wait_xcnt 0x0
	v_cndmask_b32_e64 v1, 0, 1, vcc_lo
	global_store_b8 v[2:3], v1, off
.LBB15_2049:
	s_mov_b32 s0, 0
	s_branch .LBB15_2051
.LBB15_2050:
	s_mov_b32 s0, -1
	s_mov_b32 s7, 0
.LBB15_2051:
	s_and_b32 vcc_lo, exec_lo, s0
	s_cbranch_vccz .LBB15_2090
; %bb.2052:
	s_cmp_lt_i32 s2, 5
	s_mov_b32 s0, -1
	s_cbranch_scc1 .LBB15_2073
; %bb.2053:
	s_cmp_lt_i32 s2, 8
	s_cbranch_scc1 .LBB15_2063
; %bb.2054:
	s_cmp_lt_i32 s2, 9
	s_cbranch_scc1 .LBB15_2060
; %bb.2055:
	s_cmp_gt_i32 s2, 9
	s_cbranch_scc0 .LBB15_2057
; %bb.2056:
	s_wait_xcnt 0x0
	v_cvt_f64_f32_e32 v[4:5], v14
	v_mov_b32_e32 v6, 0
	s_mov_b32 s0, 0
	s_delay_alu instid0(VALU_DEP_1)
	v_mov_b32_e32 v7, v6
	global_store_b128 v[2:3], v[4:7], off
.LBB15_2057:
	s_and_not1_b32 vcc_lo, exec_lo, s0
	s_cbranch_vccnz .LBB15_2059
; %bb.2058:
	v_mov_b32_e32 v15, 0
	global_store_b64 v[2:3], v[14:15], off
.LBB15_2059:
	s_mov_b32 s0, 0
.LBB15_2060:
	s_delay_alu instid0(SALU_CYCLE_1)
	s_and_not1_b32 vcc_lo, exec_lo, s0
	s_cbranch_vccnz .LBB15_2062
; %bb.2061:
	s_wait_xcnt 0x0
	v_cvt_f16_f32_e32 v1, v14
	s_delay_alu instid0(VALU_DEP_1)
	v_and_b32_e32 v1, 0xffff, v1
	global_store_b32 v[2:3], v1, off
.LBB15_2062:
	s_mov_b32 s0, 0
.LBB15_2063:
	s_delay_alu instid0(SALU_CYCLE_1)
	s_and_not1_b32 vcc_lo, exec_lo, s0
	s_cbranch_vccnz .LBB15_2072
; %bb.2064:
	s_cmp_lt_i32 s2, 6
	s_mov_b32 s0, -1
	s_cbranch_scc1 .LBB15_2070
; %bb.2065:
	s_cmp_gt_i32 s2, 6
	s_cbranch_scc0 .LBB15_2067
; %bb.2066:
	s_wait_xcnt 0x0
	v_cvt_f64_f32_e32 v[4:5], v14
	s_mov_b32 s0, 0
	global_store_b64 v[2:3], v[4:5], off
.LBB15_2067:
	s_and_not1_b32 vcc_lo, exec_lo, s0
	s_cbranch_vccnz .LBB15_2069
; %bb.2068:
	global_store_b32 v[2:3], v14, off
.LBB15_2069:
	s_mov_b32 s0, 0
.LBB15_2070:
	s_delay_alu instid0(SALU_CYCLE_1)
	s_and_not1_b32 vcc_lo, exec_lo, s0
	s_cbranch_vccnz .LBB15_2072
; %bb.2071:
	s_wait_xcnt 0x0
	v_cvt_f16_f32_e32 v1, v14
	global_store_b16 v[2:3], v1, off
.LBB15_2072:
	s_mov_b32 s0, 0
.LBB15_2073:
	s_delay_alu instid0(SALU_CYCLE_1)
	s_and_not1_b32 vcc_lo, exec_lo, s0
	s_cbranch_vccnz .LBB15_2089
; %bb.2074:
	s_cmp_lt_i32 s2, 2
	s_mov_b32 s0, -1
	s_cbranch_scc1 .LBB15_2084
; %bb.2075:
	s_cmp_lt_i32 s2, 3
	s_cbranch_scc1 .LBB15_2081
; %bb.2076:
	s_cmp_gt_i32 s2, 3
	s_cbranch_scc0 .LBB15_2078
; %bb.2077:
	s_wait_xcnt 0x0
	v_trunc_f32_e32 v1, v14
	s_mov_b32 s0, 0
	s_delay_alu instid0(VALU_DEP_1) | instskip(NEXT) | instid1(VALU_DEP_1)
	v_mul_f32_e64 v4, 0x2f800000, |v1|
	v_floor_f32_e32 v5, v4
	v_ashrrev_i32_e32 v4, 31, v1
	s_delay_alu instid0(VALU_DEP_2) | instskip(SKIP_1) | instid1(VALU_DEP_3)
	v_fma_f32 v6, 0xcf800000, v5, |v1|
	v_cvt_u32_f32_e32 v1, v5
	v_mov_b32_e32 v5, v4
	s_delay_alu instid0(VALU_DEP_3) | instskip(NEXT) | instid1(VALU_DEP_3)
	v_cvt_u32_f32_e32 v6, v6
	v_xor_b32_e32 v7, v1, v4
	s_delay_alu instid0(VALU_DEP_2) | instskip(NEXT) | instid1(VALU_DEP_1)
	v_xor_b32_e32 v6, v6, v4
	v_sub_nc_u64_e32 v[4:5], v[6:7], v[4:5]
	global_store_b64 v[2:3], v[4:5], off
.LBB15_2078:
	s_and_not1_b32 vcc_lo, exec_lo, s0
	s_cbranch_vccnz .LBB15_2080
; %bb.2079:
	s_wait_xcnt 0x0
	v_cvt_i32_f32_e32 v1, v14
	global_store_b32 v[2:3], v1, off
.LBB15_2080:
	s_mov_b32 s0, 0
.LBB15_2081:
	s_delay_alu instid0(SALU_CYCLE_1)
	s_and_not1_b32 vcc_lo, exec_lo, s0
	s_cbranch_vccnz .LBB15_2083
; %bb.2082:
	s_wait_xcnt 0x0
	v_cvt_i32_f32_e32 v1, v14
	global_store_b16 v[2:3], v1, off
.LBB15_2083:
	s_mov_b32 s0, 0
.LBB15_2084:
	s_delay_alu instid0(SALU_CYCLE_1)
	s_and_not1_b32 vcc_lo, exec_lo, s0
	s_cbranch_vccnz .LBB15_2089
; %bb.2085:
	s_cmp_gt_i32 s2, 0
	s_mov_b32 s0, -1
	s_cbranch_scc0 .LBB15_2087
; %bb.2086:
	s_wait_xcnt 0x0
	v_cvt_i32_f32_e32 v1, v14
	s_mov_b32 s0, 0
	global_store_b8 v[2:3], v1, off
.LBB15_2087:
	s_and_not1_b32 vcc_lo, exec_lo, s0
	s_cbranch_vccnz .LBB15_2089
; %bb.2088:
	s_wait_xcnt 0x0
	v_trunc_f32_e32 v1, v14
	s_delay_alu instid0(VALU_DEP_1) | instskip(NEXT) | instid1(VALU_DEP_1)
	v_mul_f32_e64 v4, 0x2f800000, |v1|
	v_floor_f32_e32 v4, v4
	s_delay_alu instid0(VALU_DEP_1) | instskip(SKIP_1) | instid1(VALU_DEP_2)
	v_fma_f32 v4, 0xcf800000, v4, |v1|
	v_ashrrev_i32_e32 v1, 31, v1
	v_cvt_u32_f32_e32 v4, v4
	s_delay_alu instid0(VALU_DEP_1) | instskip(NEXT) | instid1(VALU_DEP_1)
	v_xor_b32_e32 v4, v4, v1
	v_sub_nc_u32_e32 v1, v4, v1
	global_store_b8 v[2:3], v1, off
.LBB15_2089:
	s_mov_b32 s7, -1
.LBB15_2090:
	s_delay_alu instid0(SALU_CYCLE_1)
	s_and_not1_b32 vcc_lo, exec_lo, s7
	s_cbranch_vccnz .LBB15_2167
; %bb.2091:
	s_wait_xcnt 0x0
	v_mov_b32_e32 v1, 0
	s_cmp_lt_i32 s2, 11
	s_delay_alu instid0(VALU_DEP_1)
	v_add_nc_u64_e32 v[2:3], s[4:5], v[0:1]
	s_cbranch_scc1 .LBB15_2168
; %bb.2092:
	s_mov_b32 s4, -1
	s_mov_b32 s3, 0
	s_cmp_gt_i32 s2, 25
	s_mov_b32 s0, 0
	s_cbranch_scc0 .LBB15_2125
; %bb.2093:
	s_cmp_gt_i32 s2, 28
	s_cbranch_scc0 .LBB15_2109
; %bb.2094:
	s_cmp_gt_i32 s2, 43
	;; [unrolled: 3-line block ×3, first 2 shown]
	s_cbranch_scc0 .LBB15_2099
; %bb.2096:
	s_cmp_eq_u32 s2, 46
	s_mov_b32 s0, -1
	s_cbranch_scc0 .LBB15_2098
; %bb.2097:
	v_bfe_u32 v0, v8, 16, 1
	v_cmp_o_f32_e32 vcc_lo, v8, v8
	s_mov_b32 s0, 0
	s_delay_alu instid0(VALU_DEP_2) | instskip(NEXT) | instid1(VALU_DEP_1)
	v_add3_u32 v0, v8, v0, 0x7fff
	v_lshrrev_b32_e32 v0, 16, v0
	s_delay_alu instid0(VALU_DEP_1)
	v_cndmask_b32_e32 v0, 0x7fc0, v0, vcc_lo
	global_store_b32 v[2:3], v0, off
.LBB15_2098:
	s_mov_b32 s4, 0
.LBB15_2099:
	s_delay_alu instid0(SALU_CYCLE_1)
	s_and_b32 vcc_lo, exec_lo, s4
	s_cbranch_vccz .LBB15_2104
; %bb.2100:
	s_cmp_eq_u32 s2, 44
	s_mov_b32 s0, -1
	s_cbranch_scc0 .LBB15_2104
; %bb.2101:
	v_bfe_u32 v1, v8, 23, 8
	s_wait_xcnt 0x0
	v_mov_b32_e32 v0, 0xff
	s_mov_b32 s4, exec_lo
	s_delay_alu instid0(VALU_DEP_2)
	v_cmpx_ne_u32_e32 0xff, v1
	s_cbranch_execz .LBB15_2103
; %bb.2102:
	v_and_b32_e32 v0, 0x400000, v8
	v_and_or_b32 v1, 0x3fffff, v8, v1
	s_delay_alu instid0(VALU_DEP_2) | instskip(NEXT) | instid1(VALU_DEP_2)
	v_cmp_ne_u32_e32 vcc_lo, 0, v0
	v_cmp_ne_u32_e64 s0, 0, v1
	v_lshrrev_b32_e32 v0, 23, v8
	s_and_b32 s0, vcc_lo, s0
	s_delay_alu instid0(SALU_CYCLE_1) | instskip(NEXT) | instid1(VALU_DEP_1)
	v_cndmask_b32_e64 v1, 0, 1, s0
	v_add_nc_u32_e32 v0, v0, v1
.LBB15_2103:
	s_or_b32 exec_lo, exec_lo, s4
	s_mov_b32 s0, 0
	global_store_b8 v[2:3], v0, off
.LBB15_2104:
	s_mov_b32 s4, 0
.LBB15_2105:
	s_delay_alu instid0(SALU_CYCLE_1)
	s_and_b32 vcc_lo, exec_lo, s4
	s_cbranch_vccz .LBB15_2108
; %bb.2106:
	s_cmp_eq_u32 s2, 29
	s_mov_b32 s0, -1
	s_cbranch_scc0 .LBB15_2108
; %bb.2107:
	s_wait_xcnt 0x0
	v_trunc_f32_e32 v0, v8
	s_mov_b32 s0, 0
	s_delay_alu instid0(VALU_DEP_1) | instskip(NEXT) | instid1(VALU_DEP_1)
	v_mul_f32_e32 v1, 0x2f800000, v0
	v_floor_f32_e32 v1, v1
	s_delay_alu instid0(VALU_DEP_1) | instskip(SKIP_1) | instid1(VALU_DEP_2)
	v_fmamk_f32 v0, v1, 0xcf800000, v0
	v_cvt_u32_f32_e32 v1, v1
	v_cvt_u32_f32_e32 v0, v0
	global_store_b64 v[2:3], v[0:1], off
.LBB15_2108:
	s_mov_b32 s4, 0
.LBB15_2109:
	s_delay_alu instid0(SALU_CYCLE_1)
	s_and_b32 vcc_lo, exec_lo, s4
	s_cbranch_vccz .LBB15_2124
; %bb.2110:
	s_cmp_lt_i32 s2, 27
	s_mov_b32 s4, -1
	s_cbranch_scc1 .LBB15_2116
; %bb.2111:
	s_cmp_gt_i32 s2, 27
	s_cbranch_scc0 .LBB15_2113
; %bb.2112:
	s_wait_xcnt 0x0
	v_cvt_u32_f32_e32 v0, v8
	s_mov_b32 s4, 0
	global_store_b32 v[2:3], v0, off
.LBB15_2113:
	s_and_not1_b32 vcc_lo, exec_lo, s4
	s_cbranch_vccnz .LBB15_2115
; %bb.2114:
	s_wait_xcnt 0x0
	v_cvt_u32_f32_e32 v0, v8
	global_store_b16 v[2:3], v0, off
.LBB15_2115:
	s_mov_b32 s4, 0
.LBB15_2116:
	s_delay_alu instid0(SALU_CYCLE_1)
	s_and_not1_b32 vcc_lo, exec_lo, s4
	s_cbranch_vccnz .LBB15_2124
; %bb.2117:
	s_wait_xcnt 0x0
	v_and_b32_e32 v0, 0x7fffffff, v8
	v_mov_b32_e32 v1, 0x80
	s_mov_b32 s4, exec_lo
	s_delay_alu instid0(VALU_DEP_2)
	v_cmpx_gt_u32_e32 0x43800000, v0
	s_cbranch_execz .LBB15_2123
; %bb.2118:
	v_cmp_lt_u32_e32 vcc_lo, 0x3bffffff, v0
	s_mov_b32 s5, 0
                                        ; implicit-def: $vgpr0
	s_and_saveexec_b32 s7, vcc_lo
	s_delay_alu instid0(SALU_CYCLE_1)
	s_xor_b32 s7, exec_lo, s7
	s_cbranch_execz .LBB15_2185
; %bb.2119:
	v_bfe_u32 v0, v8, 20, 1
	s_mov_b32 s5, exec_lo
	s_delay_alu instid0(VALU_DEP_1) | instskip(NEXT) | instid1(VALU_DEP_1)
	v_add3_u32 v0, v8, v0, 0x487ffff
	v_lshrrev_b32_e32 v0, 20, v0
	s_and_not1_saveexec_b32 s7, s7
	s_cbranch_execnz .LBB15_2186
.LBB15_2120:
	s_or_b32 exec_lo, exec_lo, s7
	v_mov_b32_e32 v1, 0
	s_and_saveexec_b32 s7, s5
.LBB15_2121:
	v_lshrrev_b32_e32 v1, 24, v8
	s_delay_alu instid0(VALU_DEP_1)
	v_and_or_b32 v1, 0x80, v1, v0
.LBB15_2122:
	s_or_b32 exec_lo, exec_lo, s7
.LBB15_2123:
	s_delay_alu instid0(SALU_CYCLE_1)
	s_or_b32 exec_lo, exec_lo, s4
	global_store_b8 v[2:3], v1, off
.LBB15_2124:
	s_mov_b32 s4, 0
.LBB15_2125:
	s_delay_alu instid0(SALU_CYCLE_1)
	s_and_b32 vcc_lo, exec_lo, s4
	s_cbranch_vccz .LBB15_2165
; %bb.2126:
	s_cmp_gt_i32 s2, 22
	s_mov_b32 s3, -1
	s_cbranch_scc0 .LBB15_2158
; %bb.2127:
	s_cmp_lt_i32 s2, 24
	s_cbranch_scc1 .LBB15_2147
; %bb.2128:
	s_cmp_gt_i32 s2, 24
	s_cbranch_scc0 .LBB15_2136
; %bb.2129:
	s_wait_xcnt 0x0
	v_and_b32_e32 v0, 0x7fffffff, v8
	v_mov_b32_e32 v1, 0x80
	s_mov_b32 s3, exec_lo
	s_delay_alu instid0(VALU_DEP_2)
	v_cmpx_gt_u32_e32 0x47800000, v0
	s_cbranch_execz .LBB15_2135
; %bb.2130:
	v_cmp_lt_u32_e32 vcc_lo, 0x37ffffff, v0
	s_mov_b32 s4, 0
                                        ; implicit-def: $vgpr0
	s_and_saveexec_b32 s5, vcc_lo
	s_delay_alu instid0(SALU_CYCLE_1)
	s_xor_b32 s5, exec_lo, s5
	s_cbranch_execz .LBB15_2188
; %bb.2131:
	v_bfe_u32 v0, v8, 21, 1
	s_mov_b32 s4, exec_lo
	s_delay_alu instid0(VALU_DEP_1) | instskip(NEXT) | instid1(VALU_DEP_1)
	v_add3_u32 v0, v8, v0, 0x88fffff
	v_lshrrev_b32_e32 v0, 21, v0
	s_and_not1_saveexec_b32 s5, s5
	s_cbranch_execnz .LBB15_2189
.LBB15_2132:
	s_or_b32 exec_lo, exec_lo, s5
	v_mov_b32_e32 v1, 0
	s_and_saveexec_b32 s5, s4
.LBB15_2133:
	v_lshrrev_b32_e32 v1, 24, v8
	s_delay_alu instid0(VALU_DEP_1)
	v_and_or_b32 v1, 0x80, v1, v0
.LBB15_2134:
	s_or_b32 exec_lo, exec_lo, s5
.LBB15_2135:
	s_delay_alu instid0(SALU_CYCLE_1)
	s_or_b32 exec_lo, exec_lo, s3
	s_mov_b32 s3, 0
	global_store_b8 v[2:3], v1, off
.LBB15_2136:
	s_and_b32 vcc_lo, exec_lo, s3
	s_cbranch_vccz .LBB15_2146
; %bb.2137:
	s_wait_xcnt 0x0
	v_and_b32_e32 v1, 0x7fffffff, v8
	s_mov_b32 s3, exec_lo
                                        ; implicit-def: $vgpr0
	s_delay_alu instid0(VALU_DEP_1)
	v_cmpx_gt_u32_e32 0x43f00000, v1
	s_xor_b32 s3, exec_lo, s3
	s_cbranch_execz .LBB15_2143
; %bb.2138:
	s_mov_b32 s4, exec_lo
                                        ; implicit-def: $vgpr0
	v_cmpx_lt_u32_e32 0x3c7fffff, v1
	s_xor_b32 s4, exec_lo, s4
; %bb.2139:
	v_bfe_u32 v0, v8, 20, 1
	s_delay_alu instid0(VALU_DEP_1) | instskip(NEXT) | instid1(VALU_DEP_1)
	v_add3_u32 v0, v8, v0, 0x407ffff
	v_and_b32_e32 v1, 0xff00000, v0
	v_lshrrev_b32_e32 v0, 20, v0
	s_delay_alu instid0(VALU_DEP_2) | instskip(NEXT) | instid1(VALU_DEP_2)
	v_cmp_ne_u32_e32 vcc_lo, 0x7f00000, v1
	v_cndmask_b32_e32 v0, 0x7e, v0, vcc_lo
; %bb.2140:
	s_and_not1_saveexec_b32 s4, s4
; %bb.2141:
	v_add_f32_e64 v0, 0x46800000, |v8|
; %bb.2142:
	s_or_b32 exec_lo, exec_lo, s4
                                        ; implicit-def: $vgpr1
.LBB15_2143:
	s_and_not1_saveexec_b32 s3, s3
; %bb.2144:
	v_mov_b32_e32 v0, 0x7f
	v_cmp_lt_u32_e32 vcc_lo, 0x7f800000, v1
	s_delay_alu instid0(VALU_DEP_2)
	v_cndmask_b32_e32 v0, 0x7e, v0, vcc_lo
; %bb.2145:
	s_or_b32 exec_lo, exec_lo, s3
	v_lshrrev_b32_e32 v1, 24, v8
	s_delay_alu instid0(VALU_DEP_1)
	v_and_or_b32 v0, 0x80, v1, v0
	global_store_b8 v[2:3], v0, off
.LBB15_2146:
	s_mov_b32 s3, 0
.LBB15_2147:
	s_delay_alu instid0(SALU_CYCLE_1)
	s_and_not1_b32 vcc_lo, exec_lo, s3
	s_cbranch_vccnz .LBB15_2157
; %bb.2148:
	s_wait_xcnt 0x0
	v_and_b32_e32 v1, 0x7fffffff, v8
	s_mov_b32 s3, exec_lo
                                        ; implicit-def: $vgpr0
	s_delay_alu instid0(VALU_DEP_1)
	v_cmpx_gt_u32_e32 0x47800000, v1
	s_xor_b32 s3, exec_lo, s3
	s_cbranch_execz .LBB15_2154
; %bb.2149:
	s_mov_b32 s4, exec_lo
                                        ; implicit-def: $vgpr0
	v_cmpx_lt_u32_e32 0x387fffff, v1
	s_xor_b32 s4, exec_lo, s4
; %bb.2150:
	v_bfe_u32 v0, v8, 21, 1
	s_delay_alu instid0(VALU_DEP_1) | instskip(NEXT) | instid1(VALU_DEP_1)
	v_add3_u32 v0, v8, v0, 0x80fffff
	v_lshrrev_b32_e32 v0, 21, v0
; %bb.2151:
	s_and_not1_saveexec_b32 s4, s4
; %bb.2152:
	v_add_f32_e64 v0, 0x43000000, |v8|
; %bb.2153:
	s_or_b32 exec_lo, exec_lo, s4
                                        ; implicit-def: $vgpr1
.LBB15_2154:
	s_and_not1_saveexec_b32 s3, s3
; %bb.2155:
	v_mov_b32_e32 v0, 0x7f
	v_cmp_lt_u32_e32 vcc_lo, 0x7f800000, v1
	s_delay_alu instid0(VALU_DEP_2)
	v_cndmask_b32_e32 v0, 0x7c, v0, vcc_lo
; %bb.2156:
	s_or_b32 exec_lo, exec_lo, s3
	v_lshrrev_b32_e32 v1, 24, v8
	s_delay_alu instid0(VALU_DEP_1)
	v_and_or_b32 v0, 0x80, v1, v0
	global_store_b8 v[2:3], v0, off
.LBB15_2157:
	s_mov_b32 s3, 0
.LBB15_2158:
	s_delay_alu instid0(SALU_CYCLE_1)
	s_and_not1_b32 vcc_lo, exec_lo, s3
	s_mov_b32 s3, 0
	s_cbranch_vccnz .LBB15_2165
; %bb.2159:
	s_cmp_gt_i32 s2, 14
	s_mov_b32 s3, -1
	s_cbranch_scc0 .LBB15_2163
; %bb.2160:
	s_cmp_eq_u32 s2, 15
	s_mov_b32 s0, -1
	s_cbranch_scc0 .LBB15_2162
; %bb.2161:
	s_wait_xcnt 0x0
	v_bfe_u32 v0, v8, 16, 1
	v_cmp_o_f32_e32 vcc_lo, v8, v8
	s_mov_b32 s0, 0
	s_delay_alu instid0(VALU_DEP_2) | instskip(NEXT) | instid1(VALU_DEP_1)
	v_add3_u32 v0, v8, v0, 0x7fff
	v_lshrrev_b32_e32 v0, 16, v0
	s_delay_alu instid0(VALU_DEP_1)
	v_cndmask_b32_e32 v0, 0x7fc0, v0, vcc_lo
	global_store_b16 v[2:3], v0, off
.LBB15_2162:
	s_mov_b32 s3, 0
.LBB15_2163:
	s_delay_alu instid0(SALU_CYCLE_1)
	s_and_b32 vcc_lo, exec_lo, s3
	s_mov_b32 s3, 0
	s_cbranch_vccz .LBB15_2165
; %bb.2164:
	s_cmp_lg_u32 s2, 11
	s_mov_b32 s3, -1
	s_cselect_b32 s0, -1, 0
.LBB15_2165:
	s_delay_alu instid0(SALU_CYCLE_1)
	s_and_b32 vcc_lo, exec_lo, s0
	s_cbranch_vccnz .LBB15_2187
.LBB15_2166:
	s_mov_b32 s0, 0
	s_branch .LBB15_1768
.LBB15_2167:
	s_mov_b32 s0, 0
	s_mov_b32 s3, 0
                                        ; implicit-def: $vgpr2_vgpr3
                                        ; implicit-def: $sgpr6
	s_branch .LBB15_1768
.LBB15_2168:
	s_mov_b32 s3, 0
	s_mov_b32 s0, -1
	s_branch .LBB15_1768
.LBB15_2169:
	s_or_b32 s1, s1, exec_lo
	s_trap 2
	s_cbranch_execz .LBB15_1635
	s_branch .LBB15_1636
.LBB15_2170:
	s_and_not1_saveexec_b32 s11, s11
	s_cbranch_execz .LBB15_1717
.LBB15_2171:
	v_add_f32_e64 v1, 0x46000000, |v10|
	s_and_not1_b32 s10, s10, exec_lo
	s_delay_alu instid0(VALU_DEP_1) | instskip(NEXT) | instid1(VALU_DEP_1)
	v_and_b32_e32 v1, 0xff, v1
	v_cmp_ne_u32_e32 vcc_lo, 0, v1
	s_and_b32 s12, vcc_lo, exec_lo
	s_delay_alu instid0(SALU_CYCLE_1)
	s_or_b32 s10, s10, s12
	s_or_b32 exec_lo, exec_lo, s11
	v_mov_b32_e32 v3, 0
	s_and_saveexec_b32 s11, s10
	s_cbranch_execnz .LBB15_1718
	s_branch .LBB15_1719
.LBB15_2172:
	s_or_b32 s1, s1, exec_lo
	s_trap 2
	s_cbranch_execz .LBB15_1765
	s_branch .LBB15_1766
.LBB15_2173:
	s_and_not1_saveexec_b32 s10, s10
	s_cbranch_execz .LBB15_1730
.LBB15_2174:
	v_add_f32_e64 v1, 0x42800000, |v10|
	s_and_not1_b32 s7, s7, exec_lo
	s_delay_alu instid0(VALU_DEP_1) | instskip(NEXT) | instid1(VALU_DEP_1)
	v_and_b32_e32 v1, 0xff, v1
	v_cmp_ne_u32_e32 vcc_lo, 0, v1
	s_and_b32 s11, vcc_lo, exec_lo
	s_delay_alu instid0(SALU_CYCLE_1)
	s_or_b32 s7, s7, s11
	s_or_b32 exec_lo, exec_lo, s10
	v_mov_b32_e32 v3, 0
	s_and_saveexec_b32 s10, s7
	s_cbranch_execnz .LBB15_1731
	s_branch .LBB15_1732
.LBB15_2175:
	s_and_not1_saveexec_b32 s11, s11
	s_cbranch_execz .LBB15_1881
.LBB15_2176:
	v_add_f32_e64 v1, 0x46000000, |v12|
	s_and_not1_b32 s10, s10, exec_lo
	s_delay_alu instid0(VALU_DEP_1) | instskip(NEXT) | instid1(VALU_DEP_1)
	v_and_b32_e32 v1, 0xff, v1
	v_cmp_ne_u32_e32 vcc_lo, 0, v1
	s_and_b32 s12, vcc_lo, exec_lo
	s_delay_alu instid0(SALU_CYCLE_1)
	s_or_b32 s10, s10, s12
	s_or_b32 exec_lo, exec_lo, s11
	v_mov_b32_e32 v3, 0
	s_and_saveexec_b32 s11, s10
	s_cbranch_execnz .LBB15_1882
	s_branch .LBB15_1883
.LBB15_2177:
	s_or_b32 s1, s1, exec_lo
	s_trap 2
	s_cbranch_execz .LBB15_1929
	s_branch .LBB15_1930
.LBB15_2178:
	s_and_not1_saveexec_b32 s10, s10
	s_cbranch_execz .LBB15_1894
.LBB15_2179:
	v_add_f32_e64 v1, 0x42800000, |v12|
	s_and_not1_b32 s7, s7, exec_lo
	s_delay_alu instid0(VALU_DEP_1) | instskip(NEXT) | instid1(VALU_DEP_1)
	v_and_b32_e32 v1, 0xff, v1
	v_cmp_ne_u32_e32 vcc_lo, 0, v1
	s_and_b32 s11, vcc_lo, exec_lo
	s_delay_alu instid0(SALU_CYCLE_1)
	s_or_b32 s7, s7, s11
	s_or_b32 exec_lo, exec_lo, s10
	v_mov_b32_e32 v3, 0
	s_and_saveexec_b32 s10, s7
	s_cbranch_execnz .LBB15_1895
	s_branch .LBB15_1896
.LBB15_2180:
	s_and_not1_saveexec_b32 s11, s11
	s_cbranch_execz .LBB15_2000
.LBB15_2181:
	v_add_f32_e64 v1, 0x46000000, |v14|
	s_and_not1_b32 s10, s10, exec_lo
	s_delay_alu instid0(VALU_DEP_1) | instskip(NEXT) | instid1(VALU_DEP_1)
	v_and_b32_e32 v1, 0xff, v1
	v_cmp_ne_u32_e32 vcc_lo, 0, v1
	s_and_b32 s12, vcc_lo, exec_lo
	s_delay_alu instid0(SALU_CYCLE_1)
	s_or_b32 s10, s10, s12
	s_or_b32 exec_lo, exec_lo, s11
	v_mov_b32_e32 v4, 0
	s_and_saveexec_b32 s11, s10
	s_cbranch_execnz .LBB15_2001
	s_branch .LBB15_2002
.LBB15_2182:
	s_or_b32 s1, s1, exec_lo
	s_trap 2
	s_cbranch_execz .LBB15_2048
	s_branch .LBB15_2049
.LBB15_2183:
	s_and_not1_saveexec_b32 s10, s10
	s_cbranch_execz .LBB15_2013
.LBB15_2184:
	v_add_f32_e64 v1, 0x42800000, |v14|
	s_and_not1_b32 s7, s7, exec_lo
	s_delay_alu instid0(VALU_DEP_1) | instskip(NEXT) | instid1(VALU_DEP_1)
	v_and_b32_e32 v1, 0xff, v1
	v_cmp_ne_u32_e32 vcc_lo, 0, v1
	s_and_b32 s11, vcc_lo, exec_lo
	s_delay_alu instid0(SALU_CYCLE_1)
	s_or_b32 s7, s7, s11
	s_or_b32 exec_lo, exec_lo, s10
	v_mov_b32_e32 v4, 0
	s_and_saveexec_b32 s10, s7
	s_cbranch_execnz .LBB15_2014
	s_branch .LBB15_2015
.LBB15_2185:
	s_and_not1_saveexec_b32 s7, s7
	s_cbranch_execz .LBB15_2120
.LBB15_2186:
	v_add_f32_e64 v0, 0x46000000, |v8|
	s_and_not1_b32 s5, s5, exec_lo
	s_delay_alu instid0(VALU_DEP_1) | instskip(NEXT) | instid1(VALU_DEP_1)
	v_and_b32_e32 v0, 0xff, v0
	v_cmp_ne_u32_e32 vcc_lo, 0, v0
	s_and_b32 s10, vcc_lo, exec_lo
	s_delay_alu instid0(SALU_CYCLE_1)
	s_or_b32 s5, s5, s10
	s_or_b32 exec_lo, exec_lo, s7
	v_mov_b32_e32 v1, 0
	s_and_saveexec_b32 s7, s5
	s_cbranch_execnz .LBB15_2121
	s_branch .LBB15_2122
.LBB15_2187:
	s_mov_b32 s3, 0
	s_or_b32 s1, s1, exec_lo
	s_trap 2
	s_branch .LBB15_2166
.LBB15_2188:
	s_and_not1_saveexec_b32 s5, s5
	s_cbranch_execz .LBB15_2132
.LBB15_2189:
	v_add_f32_e64 v0, 0x42800000, |v8|
	s_and_not1_b32 s4, s4, exec_lo
	s_delay_alu instid0(VALU_DEP_1) | instskip(NEXT) | instid1(VALU_DEP_1)
	v_and_b32_e32 v0, 0xff, v0
	v_cmp_ne_u32_e32 vcc_lo, 0, v0
	s_and_b32 s7, vcc_lo, exec_lo
	s_delay_alu instid0(SALU_CYCLE_1)
	s_or_b32 s4, s4, s7
	s_or_b32 exec_lo, exec_lo, s5
	v_mov_b32_e32 v1, 0
	s_and_saveexec_b32 s5, s4
	s_cbranch_execnz .LBB15_2133
	s_branch .LBB15_2134
	.section	.rodata,"a",@progbits
	.p2align	6, 0x0
	.amdhsa_kernel _ZN2at6native32elementwise_kernel_manual_unrollILi128ELi4EZNS0_15gpu_kernel_implIZZZNS0_12_GLOBAL__N_124renorm_scale_factor_implERNS_18TensorIteratorBaseEdENKUlvE_clEvENKUlvE0_clEvEUlfE_EEvS5_RKT_EUlibE0_EEviT1_
		.amdhsa_group_segment_fixed_size 0
		.amdhsa_private_segment_fixed_size 0
		.amdhsa_kernarg_size 360
		.amdhsa_user_sgpr_count 2
		.amdhsa_user_sgpr_dispatch_ptr 0
		.amdhsa_user_sgpr_queue_ptr 0
		.amdhsa_user_sgpr_kernarg_segment_ptr 1
		.amdhsa_user_sgpr_dispatch_id 0
		.amdhsa_user_sgpr_kernarg_preload_length 0
		.amdhsa_user_sgpr_kernarg_preload_offset 0
		.amdhsa_user_sgpr_private_segment_size 0
		.amdhsa_wavefront_size32 1
		.amdhsa_uses_dynamic_stack 0
		.amdhsa_enable_private_segment 0
		.amdhsa_system_sgpr_workgroup_id_x 1
		.amdhsa_system_sgpr_workgroup_id_y 0
		.amdhsa_system_sgpr_workgroup_id_z 0
		.amdhsa_system_sgpr_workgroup_info 0
		.amdhsa_system_vgpr_workitem_id 0
		.amdhsa_next_free_vgpr 20
		.amdhsa_next_free_sgpr 68
		.amdhsa_named_barrier_count 0
		.amdhsa_reserve_vcc 1
		.amdhsa_float_round_mode_32 0
		.amdhsa_float_round_mode_16_64 0
		.amdhsa_float_denorm_mode_32 3
		.amdhsa_float_denorm_mode_16_64 3
		.amdhsa_fp16_overflow 0
		.amdhsa_memory_ordered 1
		.amdhsa_forward_progress 1
		.amdhsa_inst_pref_size 255
		.amdhsa_round_robin_scheduling 0
		.amdhsa_exception_fp_ieee_invalid_op 0
		.amdhsa_exception_fp_denorm_src 0
		.amdhsa_exception_fp_ieee_div_zero 0
		.amdhsa_exception_fp_ieee_overflow 0
		.amdhsa_exception_fp_ieee_underflow 0
		.amdhsa_exception_fp_ieee_inexact 0
		.amdhsa_exception_int_div_zero 0
	.end_amdhsa_kernel
	.section	.text._ZN2at6native32elementwise_kernel_manual_unrollILi128ELi4EZNS0_15gpu_kernel_implIZZZNS0_12_GLOBAL__N_124renorm_scale_factor_implERNS_18TensorIteratorBaseEdENKUlvE_clEvENKUlvE0_clEvEUlfE_EEvS5_RKT_EUlibE0_EEviT1_,"axG",@progbits,_ZN2at6native32elementwise_kernel_manual_unrollILi128ELi4EZNS0_15gpu_kernel_implIZZZNS0_12_GLOBAL__N_124renorm_scale_factor_implERNS_18TensorIteratorBaseEdENKUlvE_clEvENKUlvE0_clEvEUlfE_EEvS5_RKT_EUlibE0_EEviT1_,comdat
.Lfunc_end15:
	.size	_ZN2at6native32elementwise_kernel_manual_unrollILi128ELi4EZNS0_15gpu_kernel_implIZZZNS0_12_GLOBAL__N_124renorm_scale_factor_implERNS_18TensorIteratorBaseEdENKUlvE_clEvENKUlvE0_clEvEUlfE_EEvS5_RKT_EUlibE0_EEviT1_, .Lfunc_end15-_ZN2at6native32elementwise_kernel_manual_unrollILi128ELi4EZNS0_15gpu_kernel_implIZZZNS0_12_GLOBAL__N_124renorm_scale_factor_implERNS_18TensorIteratorBaseEdENKUlvE_clEvENKUlvE0_clEvEUlfE_EEvS5_RKT_EUlibE0_EEviT1_
                                        ; -- End function
	.set _ZN2at6native32elementwise_kernel_manual_unrollILi128ELi4EZNS0_15gpu_kernel_implIZZZNS0_12_GLOBAL__N_124renorm_scale_factor_implERNS_18TensorIteratorBaseEdENKUlvE_clEvENKUlvE0_clEvEUlfE_EEvS5_RKT_EUlibE0_EEviT1_.num_vgpr, 20
	.set _ZN2at6native32elementwise_kernel_manual_unrollILi128ELi4EZNS0_15gpu_kernel_implIZZZNS0_12_GLOBAL__N_124renorm_scale_factor_implERNS_18TensorIteratorBaseEdENKUlvE_clEvENKUlvE0_clEvEUlfE_EEvS5_RKT_EUlibE0_EEviT1_.num_agpr, 0
	.set _ZN2at6native32elementwise_kernel_manual_unrollILi128ELi4EZNS0_15gpu_kernel_implIZZZNS0_12_GLOBAL__N_124renorm_scale_factor_implERNS_18TensorIteratorBaseEdENKUlvE_clEvENKUlvE0_clEvEUlfE_EEvS5_RKT_EUlibE0_EEviT1_.numbered_sgpr, 68
	.set _ZN2at6native32elementwise_kernel_manual_unrollILi128ELi4EZNS0_15gpu_kernel_implIZZZNS0_12_GLOBAL__N_124renorm_scale_factor_implERNS_18TensorIteratorBaseEdENKUlvE_clEvENKUlvE0_clEvEUlfE_EEvS5_RKT_EUlibE0_EEviT1_.num_named_barrier, 0
	.set _ZN2at6native32elementwise_kernel_manual_unrollILi128ELi4EZNS0_15gpu_kernel_implIZZZNS0_12_GLOBAL__N_124renorm_scale_factor_implERNS_18TensorIteratorBaseEdENKUlvE_clEvENKUlvE0_clEvEUlfE_EEvS5_RKT_EUlibE0_EEviT1_.private_seg_size, 0
	.set _ZN2at6native32elementwise_kernel_manual_unrollILi128ELi4EZNS0_15gpu_kernel_implIZZZNS0_12_GLOBAL__N_124renorm_scale_factor_implERNS_18TensorIteratorBaseEdENKUlvE_clEvENKUlvE0_clEvEUlfE_EEvS5_RKT_EUlibE0_EEviT1_.uses_vcc, 1
	.set _ZN2at6native32elementwise_kernel_manual_unrollILi128ELi4EZNS0_15gpu_kernel_implIZZZNS0_12_GLOBAL__N_124renorm_scale_factor_implERNS_18TensorIteratorBaseEdENKUlvE_clEvENKUlvE0_clEvEUlfE_EEvS5_RKT_EUlibE0_EEviT1_.uses_flat_scratch, 0
	.set _ZN2at6native32elementwise_kernel_manual_unrollILi128ELi4EZNS0_15gpu_kernel_implIZZZNS0_12_GLOBAL__N_124renorm_scale_factor_implERNS_18TensorIteratorBaseEdENKUlvE_clEvENKUlvE0_clEvEUlfE_EEvS5_RKT_EUlibE0_EEviT1_.has_dyn_sized_stack, 0
	.set _ZN2at6native32elementwise_kernel_manual_unrollILi128ELi4EZNS0_15gpu_kernel_implIZZZNS0_12_GLOBAL__N_124renorm_scale_factor_implERNS_18TensorIteratorBaseEdENKUlvE_clEvENKUlvE0_clEvEUlfE_EEvS5_RKT_EUlibE0_EEviT1_.has_recursion, 0
	.set _ZN2at6native32elementwise_kernel_manual_unrollILi128ELi4EZNS0_15gpu_kernel_implIZZZNS0_12_GLOBAL__N_124renorm_scale_factor_implERNS_18TensorIteratorBaseEdENKUlvE_clEvENKUlvE0_clEvEUlfE_EEvS5_RKT_EUlibE0_EEviT1_.has_indirect_call, 0
	.section	.AMDGPU.csdata,"",@progbits
; Kernel info:
; codeLenInByte = 44092
; TotalNumSgprs: 70
; NumVgprs: 20
; ScratchSize: 0
; MemoryBound: 1
; FloatMode: 240
; IeeeMode: 1
; LDSByteSize: 0 bytes/workgroup (compile time only)
; SGPRBlocks: 0
; VGPRBlocks: 1
; NumSGPRsForWavesPerEU: 70
; NumVGPRsForWavesPerEU: 20
; NamedBarCnt: 0
; Occupancy: 16
; WaveLimiterHint : 1
; COMPUTE_PGM_RSRC2:SCRATCH_EN: 0
; COMPUTE_PGM_RSRC2:USER_SGPR: 2
; COMPUTE_PGM_RSRC2:TRAP_HANDLER: 0
; COMPUTE_PGM_RSRC2:TGID_X_EN: 1
; COMPUTE_PGM_RSRC2:TGID_Y_EN: 0
; COMPUTE_PGM_RSRC2:TGID_Z_EN: 0
; COMPUTE_PGM_RSRC2:TIDIG_COMP_CNT: 0
	.section	.AMDGPU.gpr_maximums,"",@progbits
	.set amdgpu.max_num_vgpr, 0
	.set amdgpu.max_num_agpr, 0
	.set amdgpu.max_num_sgpr, 0
	.section	.AMDGPU.csdata,"",@progbits
	.type	__hip_cuid_f1579da8656b3164,@object ; @__hip_cuid_f1579da8656b3164
	.section	.bss,"aw",@nobits
	.globl	__hip_cuid_f1579da8656b3164
__hip_cuid_f1579da8656b3164:
	.byte	0                               ; 0x0
	.size	__hip_cuid_f1579da8656b3164, 1

	.ident	"AMD clang version 22.0.0git (https://github.com/RadeonOpenCompute/llvm-project roc-7.2.4 26084 f58b06dce1f9c15707c5f808fd002e18c2accf7e)"
	.section	".note.GNU-stack","",@progbits
	.addrsig
	.addrsig_sym __hip_cuid_f1579da8656b3164
	.amdgpu_metadata
---
amdhsa.kernels:
  - .args:
      - .offset:         0
        .size:           4
        .value_kind:     by_value
      - .offset:         8
        .size:           8
        .value_kind:     by_value
      - .offset:         16
        .size:           16
        .value_kind:     by_value
    .group_segment_fixed_size: 0
    .kernarg_segment_align: 8
    .kernarg_segment_size: 32
    .language:       OpenCL C
    .language_version:
      - 2
      - 0
    .max_flat_workgroup_size: 256
    .name:           _ZN2at6native29vectorized_elementwise_kernelILi16EZZZNS0_12_GLOBAL__N_124renorm_scale_factor_implERNS_18TensorIteratorBaseEdENKUlvE_clEvENKUlvE_clEvEUldE_St5arrayIPcLm2EEEEviT0_T1_
    .private_segment_fixed_size: 0
    .sgpr_count:     16
    .sgpr_spill_count: 0
    .symbol:         _ZN2at6native29vectorized_elementwise_kernelILi16EZZZNS0_12_GLOBAL__N_124renorm_scale_factor_implERNS_18TensorIteratorBaseEdENKUlvE_clEvENKUlvE_clEvEUldE_St5arrayIPcLm2EEEEviT0_T1_.kd
    .uniform_work_group_size: 1
    .uses_dynamic_stack: false
    .vgpr_count:     24
    .vgpr_spill_count: 0
    .wavefront_size: 32
  - .args:
      - .offset:         0
        .size:           4
        .value_kind:     by_value
      - .offset:         8
        .size:           8
        .value_kind:     by_value
      - .offset:         16
        .size:           16
        .value_kind:     by_value
    .group_segment_fixed_size: 0
    .kernarg_segment_align: 8
    .kernarg_segment_size: 32
    .language:       OpenCL C
    .language_version:
      - 2
      - 0
    .max_flat_workgroup_size: 256
    .name:           _ZN2at6native29vectorized_elementwise_kernelILi8EZZZNS0_12_GLOBAL__N_124renorm_scale_factor_implERNS_18TensorIteratorBaseEdENKUlvE_clEvENKUlvE_clEvEUldE_St5arrayIPcLm2EEEEviT0_T1_
    .private_segment_fixed_size: 0
    .sgpr_count:     16
    .sgpr_spill_count: 0
    .symbol:         _ZN2at6native29vectorized_elementwise_kernelILi8EZZZNS0_12_GLOBAL__N_124renorm_scale_factor_implERNS_18TensorIteratorBaseEdENKUlvE_clEvENKUlvE_clEvEUldE_St5arrayIPcLm2EEEEviT0_T1_.kd
    .uniform_work_group_size: 1
    .uses_dynamic_stack: false
    .vgpr_count:     24
    .vgpr_spill_count: 0
    .wavefront_size: 32
  - .args:
      - .offset:         0
        .size:           4
        .value_kind:     by_value
      - .offset:         8
        .size:           8
        .value_kind:     by_value
      - .offset:         16
        .size:           16
        .value_kind:     by_value
    .group_segment_fixed_size: 0
    .kernarg_segment_align: 8
    .kernarg_segment_size: 32
    .language:       OpenCL C
    .language_version:
      - 2
      - 0
    .max_flat_workgroup_size: 256
    .name:           _ZN2at6native29vectorized_elementwise_kernelILi4EZZZNS0_12_GLOBAL__N_124renorm_scale_factor_implERNS_18TensorIteratorBaseEdENKUlvE_clEvENKUlvE_clEvEUldE_St5arrayIPcLm2EEEEviT0_T1_
    .private_segment_fixed_size: 0
    .sgpr_count:     16
    .sgpr_spill_count: 0
    .symbol:         _ZN2at6native29vectorized_elementwise_kernelILi4EZZZNS0_12_GLOBAL__N_124renorm_scale_factor_implERNS_18TensorIteratorBaseEdENKUlvE_clEvENKUlvE_clEvEUldE_St5arrayIPcLm2EEEEviT0_T1_.kd
    .uniform_work_group_size: 1
    .uses_dynamic_stack: false
    .vgpr_count:     24
    .vgpr_spill_count: 0
    .wavefront_size: 32
  - .args:
      - .offset:         0
        .size:           4
        .value_kind:     by_value
      - .offset:         8
        .size:           8
        .value_kind:     by_value
      - .offset:         16
        .size:           16
        .value_kind:     by_value
    .group_segment_fixed_size: 0
    .kernarg_segment_align: 8
    .kernarg_segment_size: 32
    .language:       OpenCL C
    .language_version:
      - 2
      - 0
    .max_flat_workgroup_size: 256
    .name:           _ZN2at6native29vectorized_elementwise_kernelILi2EZZZNS0_12_GLOBAL__N_124renorm_scale_factor_implERNS_18TensorIteratorBaseEdENKUlvE_clEvENKUlvE_clEvEUldE_St5arrayIPcLm2EEEEviT0_T1_
    .private_segment_fixed_size: 0
    .sgpr_count:     16
    .sgpr_spill_count: 0
    .symbol:         _ZN2at6native29vectorized_elementwise_kernelILi2EZZZNS0_12_GLOBAL__N_124renorm_scale_factor_implERNS_18TensorIteratorBaseEdENKUlvE_clEvENKUlvE_clEvEUldE_St5arrayIPcLm2EEEEviT0_T1_.kd
    .uniform_work_group_size: 1
    .uses_dynamic_stack: false
    .vgpr_count:     24
    .vgpr_spill_count: 0
    .wavefront_size: 32
  - .args:
      - .offset:         0
        .size:           4
        .value_kind:     by_value
      - .offset:         8
        .size:           8
        .value_kind:     by_value
      - .offset:         16
        .size:           16
        .value_kind:     by_value
      - .offset:         32
        .size:           1
        .value_kind:     by_value
      - .offset:         33
        .size:           1
        .value_kind:     by_value
      - .offset:         34
        .size:           1
        .value_kind:     by_value
      - .offset:         35
        .size:           1
        .value_kind:     by_value
    .group_segment_fixed_size: 0
    .kernarg_segment_align: 8
    .kernarg_segment_size: 36
    .language:       OpenCL C
    .language_version:
      - 2
      - 0
    .max_flat_workgroup_size: 256
    .name:           _ZN2at6native27unrolled_elementwise_kernelIZZZNS0_12_GLOBAL__N_124renorm_scale_factor_implERNS_18TensorIteratorBaseEdENKUlvE_clEvENKUlvE_clEvEUldE_St5arrayIPcLm2EELi4E23TrivialOffsetCalculatorILi1EjESC_NS0_6memory15LoadWithoutCastENSD_16StoreWithoutCastEEEviT_T0_T2_T3_T4_T5_
    .private_segment_fixed_size: 0
    .sgpr_count:     13
    .sgpr_spill_count: 0
    .symbol:         _ZN2at6native27unrolled_elementwise_kernelIZZZNS0_12_GLOBAL__N_124renorm_scale_factor_implERNS_18TensorIteratorBaseEdENKUlvE_clEvENKUlvE_clEvEUldE_St5arrayIPcLm2EELi4E23TrivialOffsetCalculatorILi1EjESC_NS0_6memory15LoadWithoutCastENSD_16StoreWithoutCastEEEviT_T0_T2_T3_T4_T5_.kd
    .uniform_work_group_size: 1
    .uses_dynamic_stack: false
    .vgpr_count:     24
    .vgpr_spill_count: 0
    .wavefront_size: 32
  - .args:
      - .offset:         0
        .size:           4
        .value_kind:     by_value
      - .offset:         8
        .size:           352
        .value_kind:     by_value
    .group_segment_fixed_size: 0
    .kernarg_segment_align: 8
    .kernarg_segment_size: 360
    .language:       OpenCL C
    .language_version:
      - 2
      - 0
    .max_flat_workgroup_size: 128
    .name:           _ZN2at6native32elementwise_kernel_manual_unrollILi128ELi4EZNS0_22gpu_kernel_impl_nocastIZZZNS0_12_GLOBAL__N_124renorm_scale_factor_implERNS_18TensorIteratorBaseEdENKUlvE_clEvENKUlvE_clEvEUldE_EEvS5_RKT_EUlibE_EEviT1_
    .private_segment_fixed_size: 0
    .sgpr_count:     62
    .sgpr_spill_count: 0
    .symbol:         _ZN2at6native32elementwise_kernel_manual_unrollILi128ELi4EZNS0_22gpu_kernel_impl_nocastIZZZNS0_12_GLOBAL__N_124renorm_scale_factor_implERNS_18TensorIteratorBaseEdENKUlvE_clEvENKUlvE_clEvEUldE_EEvS5_RKT_EUlibE_EEviT1_.kd
    .uniform_work_group_size: 1
    .uses_dynamic_stack: false
    .vgpr_count:     24
    .vgpr_spill_count: 0
    .wavefront_size: 32
  - .args:
      - .offset:         0
        .size:           4
        .value_kind:     by_value
      - .offset:         8
        .size:           40
        .value_kind:     by_value
    .group_segment_fixed_size: 0
    .kernarg_segment_align: 8
    .kernarg_segment_size: 48
    .language:       OpenCL C
    .language_version:
      - 2
      - 0
    .max_flat_workgroup_size: 128
    .name:           _ZN2at6native32elementwise_kernel_manual_unrollILi128ELi4EZNS0_15gpu_kernel_implIZZZNS0_12_GLOBAL__N_124renorm_scale_factor_implERNS_18TensorIteratorBaseEdENKUlvE_clEvENKUlvE_clEvEUldE_EEvS5_RKT_EUlibE_EEviT1_
    .private_segment_fixed_size: 0
    .sgpr_count:     30
    .sgpr_spill_count: 0
    .symbol:         _ZN2at6native32elementwise_kernel_manual_unrollILi128ELi4EZNS0_15gpu_kernel_implIZZZNS0_12_GLOBAL__N_124renorm_scale_factor_implERNS_18TensorIteratorBaseEdENKUlvE_clEvENKUlvE_clEvEUldE_EEvS5_RKT_EUlibE_EEviT1_.kd
    .uniform_work_group_size: 1
    .uses_dynamic_stack: false
    .vgpr_count:     18
    .vgpr_spill_count: 0
    .wavefront_size: 32
  - .args:
      - .offset:         0
        .size:           4
        .value_kind:     by_value
      - .offset:         8
        .size:           360
        .value_kind:     by_value
    .group_segment_fixed_size: 0
    .kernarg_segment_align: 8
    .kernarg_segment_size: 368
    .language:       OpenCL C
    .language_version:
      - 2
      - 0
    .max_flat_workgroup_size: 128
    .name:           _ZN2at6native32elementwise_kernel_manual_unrollILi128ELi4EZNS0_15gpu_kernel_implIZZZNS0_12_GLOBAL__N_124renorm_scale_factor_implERNS_18TensorIteratorBaseEdENKUlvE_clEvENKUlvE_clEvEUldE_EEvS5_RKT_EUlibE0_EEviT1_
    .private_segment_fixed_size: 0
    .sgpr_count:     70
    .sgpr_spill_count: 0
    .symbol:         _ZN2at6native32elementwise_kernel_manual_unrollILi128ELi4EZNS0_15gpu_kernel_implIZZZNS0_12_GLOBAL__N_124renorm_scale_factor_implERNS_18TensorIteratorBaseEdENKUlvE_clEvENKUlvE_clEvEUldE_EEvS5_RKT_EUlibE0_EEviT1_.kd
    .uniform_work_group_size: 1
    .uses_dynamic_stack: false
    .vgpr_count:     24
    .vgpr_spill_count: 0
    .wavefront_size: 32
  - .args:
      - .offset:         0
        .size:           4
        .value_kind:     by_value
      - .offset:         4
        .size:           4
        .value_kind:     by_value
      - .offset:         8
        .size:           16
        .value_kind:     by_value
    .group_segment_fixed_size: 0
    .kernarg_segment_align: 8
    .kernarg_segment_size: 24
    .language:       OpenCL C
    .language_version:
      - 2
      - 0
    .max_flat_workgroup_size: 256
    .name:           _ZN2at6native29vectorized_elementwise_kernelILi16EZZZNS0_12_GLOBAL__N_124renorm_scale_factor_implERNS_18TensorIteratorBaseEdENKUlvE_clEvENKUlvE0_clEvEUlfE_St5arrayIPcLm2EEEEviT0_T1_
    .private_segment_fixed_size: 0
    .sgpr_count:     14
    .sgpr_spill_count: 0
    .symbol:         _ZN2at6native29vectorized_elementwise_kernelILi16EZZZNS0_12_GLOBAL__N_124renorm_scale_factor_implERNS_18TensorIteratorBaseEdENKUlvE_clEvENKUlvE0_clEvEUlfE_St5arrayIPcLm2EEEEviT0_T1_.kd
    .uniform_work_group_size: 1
    .uses_dynamic_stack: false
    .vgpr_count:     14
    .vgpr_spill_count: 0
    .wavefront_size: 32
  - .args:
      - .offset:         0
        .size:           4
        .value_kind:     by_value
      - .offset:         4
        .size:           4
        .value_kind:     by_value
      - .offset:         8
        .size:           16
        .value_kind:     by_value
    .group_segment_fixed_size: 0
    .kernarg_segment_align: 8
    .kernarg_segment_size: 24
    .language:       OpenCL C
    .language_version:
      - 2
      - 0
    .max_flat_workgroup_size: 256
    .name:           _ZN2at6native29vectorized_elementwise_kernelILi8EZZZNS0_12_GLOBAL__N_124renorm_scale_factor_implERNS_18TensorIteratorBaseEdENKUlvE_clEvENKUlvE0_clEvEUlfE_St5arrayIPcLm2EEEEviT0_T1_
    .private_segment_fixed_size: 0
    .sgpr_count:     14
    .sgpr_spill_count: 0
    .symbol:         _ZN2at6native29vectorized_elementwise_kernelILi8EZZZNS0_12_GLOBAL__N_124renorm_scale_factor_implERNS_18TensorIteratorBaseEdENKUlvE_clEvENKUlvE0_clEvEUlfE_St5arrayIPcLm2EEEEviT0_T1_.kd
    .uniform_work_group_size: 1
    .uses_dynamic_stack: false
    .vgpr_count:     14
    .vgpr_spill_count: 0
    .wavefront_size: 32
  - .args:
      - .offset:         0
        .size:           4
        .value_kind:     by_value
      - .offset:         4
        .size:           4
        .value_kind:     by_value
      - .offset:         8
        .size:           16
        .value_kind:     by_value
    .group_segment_fixed_size: 0
    .kernarg_segment_align: 8
    .kernarg_segment_size: 24
    .language:       OpenCL C
    .language_version:
      - 2
      - 0
    .max_flat_workgroup_size: 256
    .name:           _ZN2at6native29vectorized_elementwise_kernelILi4EZZZNS0_12_GLOBAL__N_124renorm_scale_factor_implERNS_18TensorIteratorBaseEdENKUlvE_clEvENKUlvE0_clEvEUlfE_St5arrayIPcLm2EEEEviT0_T1_
    .private_segment_fixed_size: 0
    .sgpr_count:     14
    .sgpr_spill_count: 0
    .symbol:         _ZN2at6native29vectorized_elementwise_kernelILi4EZZZNS0_12_GLOBAL__N_124renorm_scale_factor_implERNS_18TensorIteratorBaseEdENKUlvE_clEvENKUlvE0_clEvEUlfE_St5arrayIPcLm2EEEEviT0_T1_.kd
    .uniform_work_group_size: 1
    .uses_dynamic_stack: false
    .vgpr_count:     14
    .vgpr_spill_count: 0
    .wavefront_size: 32
  - .args:
      - .offset:         0
        .size:           4
        .value_kind:     by_value
      - .offset:         4
        .size:           4
        .value_kind:     by_value
      - .offset:         8
        .size:           16
        .value_kind:     by_value
    .group_segment_fixed_size: 0
    .kernarg_segment_align: 8
    .kernarg_segment_size: 24
    .language:       OpenCL C
    .language_version:
      - 2
      - 0
    .max_flat_workgroup_size: 256
    .name:           _ZN2at6native29vectorized_elementwise_kernelILi2EZZZNS0_12_GLOBAL__N_124renorm_scale_factor_implERNS_18TensorIteratorBaseEdENKUlvE_clEvENKUlvE0_clEvEUlfE_St5arrayIPcLm2EEEEviT0_T1_
    .private_segment_fixed_size: 0
    .sgpr_count:     14
    .sgpr_spill_count: 0
    .symbol:         _ZN2at6native29vectorized_elementwise_kernelILi2EZZZNS0_12_GLOBAL__N_124renorm_scale_factor_implERNS_18TensorIteratorBaseEdENKUlvE_clEvENKUlvE0_clEvEUlfE_St5arrayIPcLm2EEEEviT0_T1_.kd
    .uniform_work_group_size: 1
    .uses_dynamic_stack: false
    .vgpr_count:     14
    .vgpr_spill_count: 0
    .wavefront_size: 32
  - .args:
      - .offset:         0
        .size:           4
        .value_kind:     by_value
      - .offset:         4
        .size:           4
        .value_kind:     by_value
      - .offset:         8
        .size:           16
        .value_kind:     by_value
      - .offset:         24
        .size:           1
        .value_kind:     by_value
      - .offset:         25
        .size:           1
        .value_kind:     by_value
      - .offset:         26
        .size:           1
        .value_kind:     by_value
      - .offset:         27
        .size:           1
        .value_kind:     by_value
    .group_segment_fixed_size: 0
    .kernarg_segment_align: 8
    .kernarg_segment_size: 28
    .language:       OpenCL C
    .language_version:
      - 2
      - 0
    .max_flat_workgroup_size: 256
    .name:           _ZN2at6native27unrolled_elementwise_kernelIZZZNS0_12_GLOBAL__N_124renorm_scale_factor_implERNS_18TensorIteratorBaseEdENKUlvE_clEvENKUlvE0_clEvEUlfE_St5arrayIPcLm2EELi4E23TrivialOffsetCalculatorILi1EjESC_NS0_6memory15LoadWithoutCastENSD_16StoreWithoutCastEEEviT_T0_T2_T3_T4_T5_
    .private_segment_fixed_size: 0
    .sgpr_count:     11
    .sgpr_spill_count: 0
    .symbol:         _ZN2at6native27unrolled_elementwise_kernelIZZZNS0_12_GLOBAL__N_124renorm_scale_factor_implERNS_18TensorIteratorBaseEdENKUlvE_clEvENKUlvE0_clEvEUlfE_St5arrayIPcLm2EELi4E23TrivialOffsetCalculatorILi1EjESC_NS0_6memory15LoadWithoutCastENSD_16StoreWithoutCastEEEviT_T0_T2_T3_T4_T5_.kd
    .uniform_work_group_size: 1
    .uses_dynamic_stack: false
    .vgpr_count:     14
    .vgpr_spill_count: 0
    .wavefront_size: 32
  - .args:
      - .offset:         0
        .size:           4
        .value_kind:     by_value
      - .offset:         8
        .size:           352
        .value_kind:     by_value
    .group_segment_fixed_size: 0
    .kernarg_segment_align: 8
    .kernarg_segment_size: 360
    .language:       OpenCL C
    .language_version:
      - 2
      - 0
    .max_flat_workgroup_size: 128
    .name:           _ZN2at6native32elementwise_kernel_manual_unrollILi128ELi4EZNS0_22gpu_kernel_impl_nocastIZZZNS0_12_GLOBAL__N_124renorm_scale_factor_implERNS_18TensorIteratorBaseEdENKUlvE_clEvENKUlvE0_clEvEUlfE_EEvS5_RKT_EUlibE_EEviT1_
    .private_segment_fixed_size: 0
    .sgpr_count:     62
    .sgpr_spill_count: 0
    .symbol:         _ZN2at6native32elementwise_kernel_manual_unrollILi128ELi4EZNS0_22gpu_kernel_impl_nocastIZZZNS0_12_GLOBAL__N_124renorm_scale_factor_implERNS_18TensorIteratorBaseEdENKUlvE_clEvENKUlvE0_clEvEUlfE_EEvS5_RKT_EUlibE_EEviT1_.kd
    .uniform_work_group_size: 1
    .uses_dynamic_stack: false
    .vgpr_count:     15
    .vgpr_spill_count: 0
    .wavefront_size: 32
  - .args:
      - .offset:         0
        .size:           4
        .value_kind:     by_value
      - .offset:         8
        .size:           32
        .value_kind:     by_value
    .group_segment_fixed_size: 0
    .kernarg_segment_align: 8
    .kernarg_segment_size: 40
    .language:       OpenCL C
    .language_version:
      - 2
      - 0
    .max_flat_workgroup_size: 128
    .name:           _ZN2at6native32elementwise_kernel_manual_unrollILi128ELi4EZNS0_15gpu_kernel_implIZZZNS0_12_GLOBAL__N_124renorm_scale_factor_implERNS_18TensorIteratorBaseEdENKUlvE_clEvENKUlvE0_clEvEUlfE_EEvS5_RKT_EUlibE_EEviT1_
    .private_segment_fixed_size: 0
    .sgpr_count:     29
    .sgpr_spill_count: 0
    .symbol:         _ZN2at6native32elementwise_kernel_manual_unrollILi128ELi4EZNS0_15gpu_kernel_implIZZZNS0_12_GLOBAL__N_124renorm_scale_factor_implERNS_18TensorIteratorBaseEdENKUlvE_clEvENKUlvE0_clEvEUlfE_EEvS5_RKT_EUlibE_EEviT1_.kd
    .uniform_work_group_size: 1
    .uses_dynamic_stack: false
    .vgpr_count:     16
    .vgpr_spill_count: 0
    .wavefront_size: 32
  - .args:
      - .offset:         0
        .size:           4
        .value_kind:     by_value
      - .offset:         8
        .size:           352
        .value_kind:     by_value
    .group_segment_fixed_size: 0
    .kernarg_segment_align: 8
    .kernarg_segment_size: 360
    .language:       OpenCL C
    .language_version:
      - 2
      - 0
    .max_flat_workgroup_size: 128
    .name:           _ZN2at6native32elementwise_kernel_manual_unrollILi128ELi4EZNS0_15gpu_kernel_implIZZZNS0_12_GLOBAL__N_124renorm_scale_factor_implERNS_18TensorIteratorBaseEdENKUlvE_clEvENKUlvE0_clEvEUlfE_EEvS5_RKT_EUlibE0_EEviT1_
    .private_segment_fixed_size: 0
    .sgpr_count:     70
    .sgpr_spill_count: 0
    .symbol:         _ZN2at6native32elementwise_kernel_manual_unrollILi128ELi4EZNS0_15gpu_kernel_implIZZZNS0_12_GLOBAL__N_124renorm_scale_factor_implERNS_18TensorIteratorBaseEdENKUlvE_clEvENKUlvE0_clEvEUlfE_EEvS5_RKT_EUlibE0_EEviT1_.kd
    .uniform_work_group_size: 1
    .uses_dynamic_stack: false
    .vgpr_count:     20
    .vgpr_spill_count: 0
    .wavefront_size: 32
amdhsa.target:   amdgcn-amd-amdhsa--gfx1250
amdhsa.version:
  - 1
  - 2
...

	.end_amdgpu_metadata
